;; amdgpu-corpus repo=ROCm/rocFFT kind=compiled arch=gfx950 opt=O3
	.text
	.amdgcn_target "amdgcn-amd-amdhsa--gfx950"
	.amdhsa_code_object_version 6
	.protected	bluestein_single_back_len1053_dim1_dp_op_CI_CI ; -- Begin function bluestein_single_back_len1053_dim1_dp_op_CI_CI
	.globl	bluestein_single_back_len1053_dim1_dp_op_CI_CI
	.p2align	8
	.type	bluestein_single_back_len1053_dim1_dp_op_CI_CI,@function
bluestein_single_back_len1053_dim1_dp_op_CI_CI: ; @bluestein_single_back_len1053_dim1_dp_op_CI_CI
; %bb.0:
	s_load_dwordx4 s[12:15], s[0:1], 0x28
	v_mul_u32_u24_e32 v1, 0x231, v0
	v_add_u32_sdwa v232, s2, v1 dst_sel:DWORD dst_unused:UNUSED_PAD src0_sel:DWORD src1_sel:WORD_1
	v_mov_b32_e32 v233, 0
	s_waitcnt lgkmcnt(0)
	v_cmp_gt_u64_e32 vcc, s[12:13], v[232:233]
	s_and_saveexec_b64 s[2:3], vcc
	s_cbranch_execz .LBB0_10
; %bb.1:
	s_load_dwordx4 s[4:7], s[0:1], 0x18
	s_load_dwordx4 s[8:11], s[0:1], 0x0
	v_mov_b32_e32 v2, s14
	v_mov_b32_e32 v3, s15
	s_movk_i32 s2, 0x75
	s_waitcnt lgkmcnt(0)
	s_load_dwordx4 s[12:15], s[4:5], 0x0
	v_mul_lo_u16_sdwa v1, v1, s2 dst_sel:DWORD dst_unused:UNUSED_PAD src0_sel:WORD_1 src1_sel:DWORD
	v_sub_u16_e32 v178, v0, v1
	v_mov_b32_e32 v34, 0x15f0
	v_lshlrev_b32_e32 v176, 4, v178
	s_waitcnt lgkmcnt(0)
	v_mad_u64_u32 v[0:1], s[2:3], s14, v232, 0
	v_mov_b32_e32 v4, v1
	v_mad_u64_u32 v[4:5], s[2:3], s15, v232, v[4:5]
	v_mov_b32_e32 v1, v4
	v_mad_u64_u32 v[4:5], s[2:3], s12, v178, 0
	v_mov_b32_e32 v6, v5
	v_mad_u64_u32 v[6:7], s[2:3], s13, v178, v[6:7]
	v_mov_b32_e32 v5, v6
	v_lshl_add_u64 v[0:1], v[0:1], 4, v[2:3]
	v_lshl_add_u64 v[0:1], v[4:5], 4, v[0:1]
	v_mov_b32_e32 v177, v233
	v_mad_u64_u32 v[8:9], s[2:3], s12, v34, v[0:1]
	v_lshl_add_u64 v[20:21], s[8:9], 0, v[176:177]
	s_mul_i32 s2, s13, 0x15f0
	s_movk_i32 s3, 0x1000
	v_add_u32_e32 v9, s2, v9
	v_add_co_u32_e32 v16, vcc, s3, v20
	v_mad_u64_u32 v[10:11], s[4:5], s12, v34, v[8:9]
	s_nop 0
	v_addc_co_u32_e32 v17, vcc, 0, v21, vcc
	s_movk_i32 s3, 0x2000
	global_load_dwordx4 v[36:39], v[0:1], off
	global_load_dwordx4 v[48:51], v176, s[8:9]
	v_add_u32_e32 v11, s2, v11
	v_add_co_u32_e32 v28, vcc, s3, v20
	v_mov_b32_e32 v24, 0xffffdb70
	s_mul_i32 s3, s13, 0xffffdb70
	v_mad_u64_u32 v[18:19], s[4:5], s12, v24, v[10:11]
	s_sub_i32 s3, s3, s12
	global_load_dwordx4 v[40:43], v[16:17], off offset:1520
	v_addc_co_u32_e32 v29, vcc, 0, v21, vcc
	v_add_u32_e32 v19, s3, v19
	global_load_dwordx4 v[0:3], v[8:9], off
	global_load_dwordx4 v[4:7], v[10:11], off
	global_load_dwordx4 v[44:47], v[28:29], off offset:3040
	global_load_dwordx4 v[56:59], v176, s[8:9] offset:1872
	v_mad_u64_u32 v[22:23], s[4:5], s12, v34, v[18:19]
	v_add_u32_e32 v23, s2, v23
	global_load_dwordx4 v[8:11], v[18:19], off
	global_load_dwordx4 v[12:15], v[22:23], off
	global_load_dwordx4 v[52:55], v[16:17], off offset:3392
	v_mad_u64_u32 v[22:23], s[4:5], s12, v34, v[22:23]
	s_movk_i32 s4, 0x3000
	s_nop 0
	v_add_co_u32_e32 v32, vcc, s4, v20
	v_add_u32_e32 v23, s2, v23
	s_nop 0
	v_addc_co_u32_e32 v33, vcc, 0, v21, vcc
	global_load_dwordx4 v[16:19], v[22:23], off
	global_load_dwordx4 v[60:63], v[32:33], off offset:816
	v_mad_u64_u32 v[24:25], s[4:5], s12, v24, v[22:23]
	v_add_u32_e32 v25, s3, v25
	global_load_dwordx4 v[20:23], v[24:25], off
	global_load_dwordx4 v[64:67], v176, s[8:9] offset:3744
	v_mad_u64_u32 v[30:31], s[4:5], s12, v34, v[24:25]
	v_add_u32_e32 v31, s2, v31
	global_load_dwordx4 v[24:27], v[30:31], off
	global_load_dwordx4 v[68:71], v[28:29], off offset:1168
	v_mad_u64_u32 v[34:35], s[4:5], s12, v34, v[30:31]
	v_add_u32_e32 v35, s2, v35
	global_load_dwordx4 v[72:75], v[32:33], off offset:2688
	global_load_dwordx4 v[28:31], v[34:35], off
	s_mov_b32 s2, 0
	v_mov_b32_e32 v179, s2
	s_mov_b64 s[2:3], 0x75
	s_load_dwordx4 s[4:7], s[6:7], 0x0
	v_lshl_add_u64 v[78:79], v[178:179], 0, s[2:3]
	s_mov_b64 s[2:3], 0xea
	v_lshl_add_u64 v[164:165], v[178:179], 0, s[2:3]
	s_mov_b32 s2, 0xe8584caa
	s_mov_b32 s3, 0x3febb67a
	;; [unrolled: 1-line block ×4, first 2 shown]
	s_movk_i32 s14, 0xab
                                        ; implicit-def: $vgpr144_vgpr145
                                        ; implicit-def: $vgpr148_vgpr149
                                        ; implicit-def: $vgpr152_vgpr153
                                        ; implicit-def: $vgpr156_vgpr157
	s_waitcnt vmcnt(16)
	v_accvgpr_write_b32 a8, v48
	v_mul_f64 v[32:33], v[38:39], v[50:51]
	v_mul_f64 v[34:35], v[36:37], v[50:51]
	v_fmac_f64_e32 v[32:33], v[36:37], v[48:49]
	v_fma_f64 v[34:35], v[38:39], v[48:49], -v[34:35]
	ds_write_b128 v176, v[32:35]
	v_accvgpr_write_b32 a9, v49
	v_accvgpr_write_b32 a10, v50
	;; [unrolled: 1-line block ×3, first 2 shown]
	s_waitcnt vmcnt(15)
	v_accvgpr_write_b32 a0, v40
	v_accvgpr_write_b32 a1, v41
	v_accvgpr_write_b32 a2, v42
	s_waitcnt vmcnt(14)
	v_mul_f64 v[32:33], v[2:3], v[42:43]
	v_mul_f64 v[34:35], v[0:1], v[42:43]
	v_fmac_f64_e32 v[32:33], v[0:1], v[40:41]
	v_fma_f64 v[34:35], v[2:3], v[40:41], -v[34:35]
	s_waitcnt vmcnt(12)
	v_mul_f64 v[0:1], v[6:7], v[46:47]
	v_mul_f64 v[2:3], v[4:5], v[46:47]
	v_fmac_f64_e32 v[0:1], v[4:5], v[44:45]
	v_fma_f64 v[2:3], v[6:7], v[44:45], -v[2:3]
	ds_write_b128 v176, v[0:3] offset:11232
	s_waitcnt vmcnt(10)
	v_mul_f64 v[0:1], v[10:11], v[58:59]
	v_mul_f64 v[2:3], v[8:9], v[58:59]
	v_fmac_f64_e32 v[0:1], v[8:9], v[56:57]
	v_fma_f64 v[2:3], v[10:11], v[56:57], -v[2:3]
	ds_write_b128 v176, v[0:3] offset:1872
	;; [unrolled: 6-line block ×7, first 2 shown]
	ds_write_b128 v176, v[0:3] offset:14976
	s_waitcnt lgkmcnt(0)
	s_barrier
	ds_read_b128 v[0:3], v176
	ds_read_b128 v[4:7], v176 offset:1872
	ds_read_b128 v[8:11], v176 offset:11232
	;; [unrolled: 1-line block ×8, first 2 shown]
	s_waitcnt lgkmcnt(4)
	v_add_f64 v[38:39], v[16:17], v[8:9]
	v_add_f64 v[36:37], v[0:1], v[16:17]
	v_fmac_f64_e32 v[0:1], -0.5, v[38:39]
	v_add_f64 v[38:39], v[18:19], -v[10:11]
	v_accvgpr_write_b32 a3, v43
	v_fma_f64 v[40:41], s[2:3], v[38:39], v[0:1]
	v_fmac_f64_e32 v[0:1], s[12:13], v[38:39]
	v_add_f64 v[38:39], v[2:3], v[18:19]
	v_add_f64 v[38:39], v[38:39], v[10:11]
	;; [unrolled: 1-line block ×4, first 2 shown]
	v_fmac_f64_e32 v[2:3], -0.5, v[10:11]
	v_add_f64 v[8:9], v[16:17], -v[8:9]
	s_waitcnt lgkmcnt(2)
	v_add_f64 v[10:11], v[24:25], v[12:13]
	v_fma_f64 v[42:43], s[12:13], v[8:9], v[2:3]
	v_fmac_f64_e32 v[2:3], s[2:3], v[8:9]
	v_add_f64 v[8:9], v[4:5], v[24:25]
	v_fmac_f64_e32 v[4:5], -0.5, v[10:11]
	v_add_f64 v[10:11], v[26:27], -v[14:15]
	v_fma_f64 v[16:17], s[2:3], v[10:11], v[4:5]
	v_fmac_f64_e32 v[4:5], s[12:13], v[10:11]
	v_add_f64 v[10:11], v[6:7], v[26:27]
	v_add_f64 v[10:11], v[10:11], v[14:15]
	;; [unrolled: 1-line block ×4, first 2 shown]
	v_fmac_f64_e32 v[6:7], -0.5, v[14:15]
	v_add_f64 v[12:13], v[24:25], -v[12:13]
	s_waitcnt lgkmcnt(0)
	v_add_f64 v[14:15], v[28:29], v[32:33]
	v_fma_f64 v[18:19], s[12:13], v[12:13], v[6:7]
	v_fmac_f64_e32 v[6:7], s[2:3], v[12:13]
	v_add_f64 v[12:13], v[20:21], v[28:29]
	v_fmac_f64_e32 v[20:21], -0.5, v[14:15]
	v_add_f64 v[14:15], v[30:31], -v[34:35]
	v_add_f64 v[26:27], v[30:31], v[34:35]
	v_fma_f64 v[24:25], s[2:3], v[14:15], v[20:21]
	v_fmac_f64_e32 v[20:21], s[12:13], v[14:15]
	v_add_f64 v[14:15], v[22:23], v[30:31]
	v_fmac_f64_e32 v[22:23], -0.5, v[26:27]
	v_add_f64 v[28:29], v[28:29], -v[32:33]
	v_fma_f64 v[26:27], s[12:13], v[28:29], v[22:23]
	v_fmac_f64_e32 v[22:23], s[2:3], v[28:29]
	v_mul_lo_u16_e32 v28, 3, v178
	v_lshlrev_b32_e32 v28, 4, v28
	s_barrier
	ds_write_b128 v28, v[36:39]
	ds_write_b128 v28, v[40:43] offset:16
	ds_write_b128 v28, v[0:3] offset:32
	v_mul_u32_u24_e32 v0, 3, v78
	v_lshlrev_b32_e32 v0, 4, v0
	ds_write_b128 v0, v[8:11]
	ds_write_b128 v0, v[16:19] offset:16
	v_accvgpr_write_b32 a38, v0
	ds_write_b128 v0, v[4:7] offset:32
	v_mul_u32_u24_e32 v0, 3, v164
	v_add_f64 v[12:13], v[12:13], v[32:33]
	v_add_f64 v[14:15], v[14:15], v[34:35]
	v_lshlrev_b32_e32 v0, 4, v0
	ds_write_b128 v0, v[12:15]
	ds_write_b128 v0, v[24:27] offset:16
	v_accvgpr_write_b32 a39, v0
	ds_write_b128 v0, v[20:23] offset:32
	v_mul_lo_u16_sdwa v0, v178, s14 dst_sel:DWORD dst_unused:UNUSED_PAD src0_sel:BYTE_0 src1_sel:DWORD
	v_accvgpr_write_b32 a37, v28
	v_lshrrev_b16_e32 v28, 9, v0
	v_mul_lo_u16_e32 v0, 3, v28
	v_sub_u16_e32 v0, v178, v0
	v_and_b32_e32 v29, 0xff, v0
	v_lshlrev_b32_e32 v0, 5, v29
	s_waitcnt lgkmcnt(0)
	s_barrier
	global_load_dwordx4 v[40:43], v0, s[10:11]
	global_load_dwordx4 v[36:39], v0, s[10:11] offset:16
	v_mul_lo_u16_sdwa v0, v78, s14 dst_sel:DWORD dst_unused:UNUSED_PAD src0_sel:BYTE_0 src1_sel:DWORD
	v_lshrrev_b16_e32 v30, 9, v0
	v_mul_lo_u16_e32 v0, 3, v30
	v_sub_u16_e32 v0, v78, v0
	v_and_b32_e32 v31, 0xff, v0
	v_accvgpr_write_b32 a16, v56
	v_lshlrev_b32_e32 v0, 5, v31
	s_mov_b32 s14, 0xaaab
	v_accvgpr_write_b32 a17, v57
	v_accvgpr_write_b32 a18, v58
	;; [unrolled: 1-line block ×3, first 2 shown]
	global_load_dwordx4 v[48:51], v0, s[10:11]
	global_load_dwordx4 v[56:59], v0, s[10:11] offset:16
	v_mul_u32_u24_sdwa v0, v164, s14 dst_sel:DWORD dst_unused:UNUSED_PAD src0_sel:WORD_0 src1_sel:DWORD
	v_lshrrev_b32_e32 v32, 17, v0
	v_mul_lo_u16_e32 v0, 3, v32
	v_sub_u16_e32 v33, v164, v0
	v_lshlrev_b16_e32 v0, 1, v33
	v_accvgpr_write_b32 a20, v60
	v_accvgpr_write_b32 a28, v68
	v_lshlrev_b32_e32 v0, 4, v0
	v_accvgpr_write_b32 a21, v61
	v_accvgpr_write_b32 a22, v62
	;; [unrolled: 1-line block ×6, first 2 shown]
	global_load_dwordx4 v[60:63], v0, s[10:11]
	global_load_dwordx4 v[68:71], v0, s[10:11] offset:16
	ds_read_b128 v[0:3], v176 offset:5616
	ds_read_b128 v[4:7], v176 offset:11232
	;; [unrolled: 1-line block ×4, first 2 shown]
	ds_read_b128 v[112:115], v176
	ds_read_b128 v[124:127], v176 offset:1872
	v_accvgpr_write_b32 a4, v44
	v_accvgpr_write_b32 a12, v52
	;; [unrolled: 1-line block ×16, first 2 shown]
	s_waitcnt vmcnt(5) lgkmcnt(5)
	v_mul_f64 v[12:13], v[2:3], v[42:43]
	v_mul_f64 v[14:15], v[0:1], v[42:43]
	v_fma_f64 v[12:13], v[0:1], v[40:41], -v[12:13]
	v_fmac_f64_e32 v[14:15], v[2:3], v[40:41]
	ds_read_b128 v[0:3], v176 offset:7488
	s_waitcnt vmcnt(4) lgkmcnt(5)
	v_mul_f64 v[16:17], v[6:7], v[38:39]
	v_mul_f64 v[18:19], v[4:5], v[38:39]
	v_fma_f64 v[16:17], v[4:5], v[36:37], -v[16:17]
	v_fmac_f64_e32 v[18:19], v[6:7], v[36:37]
	ds_read_b128 v[4:7], v176 offset:9360
	v_add_f64 v[26:27], v[12:13], v[16:17]
	s_waitcnt vmcnt(3) lgkmcnt(1)
	v_mul_f64 v[20:21], v[2:3], v[50:51]
	v_fma_f64 v[20:21], v[0:1], v[48:49], -v[20:21]
	v_mul_f64 v[22:23], v[0:1], v[50:51]
	s_waitcnt vmcnt(2)
	v_mul_f64 v[0:1], v[10:11], v[58:59]
	v_fmac_f64_e32 v[22:23], v[2:3], v[48:49]
	v_fma_f64 v[24:25], v[8:9], v[56:57], -v[0:1]
	ds_read_b128 v[0:3], v176 offset:14976
	v_mul_f64 v[8:9], v[8:9], v[58:59]
	v_fmac_f64_e32 v[8:9], v[10:11], v[56:57]
	s_waitcnt lgkmcnt(0)
	s_barrier
	s_waitcnt vmcnt(1)
	v_mul_f64 v[10:11], v[6:7], v[62:63]
	v_fma_f64 v[10:11], v[4:5], v[60:61], -v[10:11]
	v_mul_f64 v[4:5], v[4:5], v[62:63]
	v_fmac_f64_e32 v[4:5], v[6:7], v[60:61]
	s_waitcnt vmcnt(0)
	v_mul_f64 v[6:7], v[2:3], v[70:71]
	v_fma_f64 v[6:7], v[0:1], v[68:69], -v[6:7]
	v_mul_f64 v[0:1], v[0:1], v[70:71]
	v_fmac_f64_e32 v[0:1], v[2:3], v[68:69]
	v_add_f64 v[2:3], v[112:113], v[12:13]
	v_add_f64 v[108:109], v[2:3], v[16:17]
	;; [unrolled: 1-line block ×5, first 2 shown]
	v_fmac_f64_e32 v[114:115], -0.5, v[2:3]
	v_add_f64 v[2:3], v[12:13], -v[16:17]
	v_fma_f64 v[118:119], s[12:13], v[2:3], v[114:115]
	v_fmac_f64_e32 v[114:115], s[2:3], v[2:3]
	v_add_f64 v[2:3], v[124:125], v[20:21]
	v_add_f64 v[128:129], v[2:3], v[24:25]
	;; [unrolled: 1-line block ×5, first 2 shown]
	v_fmac_f64_e32 v[126:127], -0.5, v[2:3]
	v_add_f64 v[2:3], v[20:21], -v[24:25]
	v_add_f64 v[12:13], v[20:21], v[24:25]
	v_fma_f64 v[134:135], s[12:13], v[2:3], v[126:127]
	v_fmac_f64_e32 v[126:127], s[2:3], v[2:3]
	v_add_f64 v[2:3], v[120:121], v[10:11]
	v_fmac_f64_e32 v[124:125], -0.5, v[12:13]
	v_add_f64 v[12:13], v[22:23], -v[8:9]
	v_add_f64 v[8:9], v[10:11], v[6:7]
	v_add_f64 v[136:137], v[2:3], v[6:7]
	;; [unrolled: 1-line block ×3, first 2 shown]
	v_fmac_f64_e32 v[120:121], -0.5, v[8:9]
	v_add_f64 v[8:9], v[4:5], -v[0:1]
	v_add_f64 v[138:139], v[2:3], v[0:1]
	v_add_f64 v[0:1], v[4:5], v[0:1]
	v_fmac_f64_e32 v[112:113], -0.5, v[26:27]
	v_add_f64 v[26:27], v[14:15], -v[18:19]
	v_fmac_f64_e32 v[122:123], -0.5, v[0:1]
	v_add_f64 v[0:1], v[10:11], -v[6:7]
	v_fma_f64 v[116:117], s[2:3], v[26:27], v[112:113]
	v_fma_f64 v[132:133], s[2:3], v[12:13], v[124:125]
	;; [unrolled: 1-line block ×4, first 2 shown]
	v_fmac_f64_e32 v[122:123], s[2:3], v[0:1]
	s_load_dwordx2 s[2:3], s[0:1], 0x38
	v_mul_u32_u24_e32 v0, 9, v28
	v_add_lshl_u32 v1, v0, v29, 4
	v_mul_u32_u24_e32 v0, 9, v30
	v_add_lshl_u32 v177, v0, v31, 4
	v_mad_legacy_u16 v0, v32, 9, v33
	s_movk_i32 s0, 0x51
	v_fmac_f64_e32 v[112:113], s[12:13], v[26:27]
	v_fmac_f64_e32 v[124:125], s[12:13], v[12:13]
	;; [unrolled: 1-line block ×3, first 2 shown]
	v_accvgpr_write_b32 a56, v1
	v_lshlrev_b32_e32 v179, 4, v0
	v_cmp_gt_u16_e32 vcc, s0, v178
	ds_write_b128 v1, v[108:111]
	ds_write_b128 v1, v[116:119] offset:48
	ds_write_b128 v1, v[112:115] offset:96
	ds_write_b128 v177, v[128:131]
	ds_write_b128 v177, v[132:135] offset:48
	ds_write_b128 v177, v[124:127] offset:96
	;; [unrolled: 3-line block ×3, first 2 shown]
	s_waitcnt lgkmcnt(0)
	s_barrier
	s_and_saveexec_b64 s[0:1], vcc
	s_cbranch_execz .LBB0_3
; %bb.2:
	ds_read_b128 v[108:111], v176
	ds_read_b128 v[116:119], v176 offset:1296
	ds_read_b128 v[112:115], v176 offset:2592
	;; [unrolled: 1-line block ×12, first 2 shown]
.LBB0_3:
	s_or_b64 exec, exec, s[0:1]
	v_mov_b32_e32 v0, 57
	v_mul_lo_u16_sdwa v0, v178, v0 dst_sel:DWORD dst_unused:UNUSED_PAD src0_sel:BYTE_0 src1_sel:DWORD
	v_lshrrev_b16_e32 v233, 9, v0
	v_mul_lo_u16_e32 v0, 9, v233
	v_sub_u16_e32 v0, v178, v0
	v_and_b32_e32 v2, 0xff, v0
	s_movk_i32 s0, 0xc0
	v_mov_b64_e32 v[0:1], s[10:11]
	v_mad_u64_u32 v[0:1], s[0:1], v2, s0, v[0:1]
	global_load_dwordx4 v[24:27], v[0:1], off offset:96
	global_load_dwordx4 v[28:31], v[0:1], off offset:112
	global_load_dwordx4 v[32:35], v[0:1], off offset:128
	global_load_dwordx4 v[44:47], v[0:1], off offset:144
	global_load_dwordx4 v[84:87], v[0:1], off offset:160
	global_load_dwordx4 v[100:103], v[0:1], off offset:176
	global_load_dwordx4 v[96:99], v[0:1], off offset:192
	global_load_dwordx4 v[88:91], v[0:1], off offset:208
	global_load_dwordx4 v[104:107], v[0:1], off offset:224
	global_load_dwordx4 v[92:95], v[0:1], off offset:240
	global_load_dwordx4 v[80:83], v[0:1], off offset:256
	global_load_dwordx4 v[52:55], v[0:1], off offset:272
	s_mov_b32 s16, 0x4267c47c
	v_accvgpr_write_b32 a36, v2
	s_mov_b32 s0, 0xe00740e9
	s_mov_b32 s17, 0xbfddbe06
	;; [unrolled: 1-line block ×35, first 2 shown]
	s_waitcnt lgkmcnt(0)
	s_barrier
	s_waitcnt vmcnt(11)
	v_mul_f64 v[168:169], v[116:117], v[26:27]
	v_mul_f64 v[0:1], v[118:119], v[26:27]
	s_waitcnt vmcnt(10)
	v_mul_f64 v[170:171], v[112:113], v[30:31]
	v_fmac_f64_e32 v[168:169], v[118:119], v[24:25]
	v_mul_f64 v[2:3], v[114:115], v[30:31]
	s_waitcnt vmcnt(8)
	v_mul_f64 v[6:7], v[134:135], v[46:47]
	v_mul_f64 v[174:175], v[132:133], v[46:47]
	s_waitcnt vmcnt(4)
	v_mul_f64 v[14:15], v[122:123], v[90:91]
	v_mul_f64 v[8:9], v[126:127], v[86:87]
	;; [unrolled: 1-line block ×3, first 2 shown]
	s_waitcnt vmcnt(1)
	v_mul_f64 v[194:195], v[152:153], v[82:83]
	s_waitcnt vmcnt(0)
	v_mul_f64 v[202:203], v[156:157], v[54:55]
	v_mul_f64 v[22:23], v[158:159], v[54:55]
	v_fmac_f64_e32 v[202:203], v[158:159], v[52:53]
	v_mul_f64 v[20:21], v[154:155], v[82:83]
	v_fma_f64 v[64:65], v[116:117], v[24:25], -v[0:1]
	v_fmac_f64_e32 v[170:171], v[114:115], v[28:29]
	v_accvgpr_write_b32 a55, v47
	v_fma_f64 v[118:119], v[120:121], v[88:89], -v[14:15]
	v_fmac_f64_e32 v[194:195], v[154:155], v[80:81]
	v_fma_f64 v[0:1], v[156:157], v[52:53], -v[22:23]
	v_accvgpr_write_b32 a61, v55
	v_add_f64 v[120:121], v[168:169], -v[202:203]
	v_fma_f64 v[66:67], v[112:113], v[28:29], -v[2:3]
	v_fma_f64 v[74:75], v[132:133], v[44:45], -v[6:7]
	v_accvgpr_write_b32 a54, v46
	v_accvgpr_write_b32 a53, v45
	;; [unrolled: 1-line block ×3, first 2 shown]
	v_fmac_f64_e32 v[174:175], v[134:135], v[44:45]
	v_fma_f64 v[44:45], v[124:125], v[84:85], -v[8:9]
	v_fma_f64 v[8:9], v[152:153], v[80:81], -v[20:21]
	v_accvgpr_write_b32 a60, v54
	v_accvgpr_write_b32 a59, v53
	;; [unrolled: 1-line block ×3, first 2 shown]
	v_add_f64 v[212:213], v[64:65], v[0:1]
	v_accvgpr_write_b32 a69, v1
	v_add_f64 v[246:247], v[170:171], -v[194:195]
	v_mul_f64 v[52:53], v[120:121], s[16:17]
	v_mul_f64 v[4:5], v[130:131], v[34:35]
	v_accvgpr_write_b32 a68, v0
	v_add_f64 v[218:219], v[64:65], -v[0:1]
	v_add_f64 v[224:225], v[66:67], v[8:9]
	v_mul_f64 v[54:55], v[246:247], s[14:15]
	v_fma_f64 v[0:1], s[0:1], v[212:213], v[52:53]
	v_fma_f64 v[72:73], v[128:129], v[32:33], -v[4:5]
	v_mul_f64 v[4:5], v[218:219], s[16:17]
	v_fma_f64 v[2:3], s[12:13], v[224:225], v[54:55]
	v_add_f64 v[0:1], v[108:109], v[0:1]
	v_add_f64 v[244:245], v[66:67], -v[8:9]
	v_mul_f64 v[172:173], v[128:129], v[34:35]
	v_mul_f64 v[192:193], v[148:149], v[94:95]
	v_add_f64 v[220:221], v[168:169], v[202:203]
	v_accvgpr_write_b32 a71, v5
	v_add_f64 v[0:1], v[2:3], v[0:1]
	v_mul_f64 v[2:3], v[244:245], s[14:15]
	v_accvgpr_write_b32 a51, v35
	v_fmac_f64_e32 v[172:173], v[130:131], v[32:33]
	v_fmac_f64_e32 v[192:193], v[150:151], v[92:93]
	v_add_f64 v[228:229], v[170:171], v[194:195]
	v_accvgpr_write_b32 a70, v4
	v_fma_f64 v[4:5], v[220:221], s[0:1], -v[4:5]
	v_accvgpr_write_b32 a73, v3
	v_mul_f64 v[18:19], v[150:151], v[94:95]
	v_accvgpr_write_b32 a50, v34
	v_accvgpr_write_b32 a49, v33
	;; [unrolled: 1-line block ×3, first 2 shown]
	v_add_f64 v[4:5], v[110:111], v[4:5]
	v_accvgpr_write_b32 a72, v2
	v_fma_f64 v[2:3], v[228:229], s[12:13], -v[2:3]
	v_add_f64 v[34:35], v[172:173], -v[192:193]
	v_fma_f64 v[6:7], v[148:149], v[92:93], -v[18:19]
	v_add_f64 v[2:3], v[2:3], v[4:5]
	v_mul_f64 v[4:5], v[34:35], s[28:29]
	v_add_f64 v[234:235], v[72:73], v[6:7]
	v_accvgpr_write_b32 a75, v5
	v_accvgpr_write_b32 a74, v4
	v_fma_f64 v[4:5], s[18:19], v[234:235], v[4:5]
	v_add_f64 v[20:21], v[72:73], -v[6:7]
	v_mul_f64 v[190:191], v[144:145], v[106:107]
	v_add_f64 v[0:1], v[4:5], v[0:1]
	v_mul_f64 v[4:5], v[20:21], s[28:29]
	v_fmac_f64_e32 v[190:191], v[146:147], v[104:105]
	v_add_f64 v[238:239], v[172:173], v[192:193]
	v_accvgpr_write_b32 a77, v5
	v_mul_f64 v[16:17], v[146:147], v[106:107]
	v_accvgpr_write_b32 a76, v4
	v_fma_f64 v[4:5], v[238:239], s[18:19], -v[4:5]
	v_add_f64 v[214:215], v[174:175], -v[190:191]
	v_fmac_f64_e32 v[188:189], v[122:123], v[88:89]
	v_fma_f64 v[122:123], v[144:145], v[104:105], -v[16:17]
	v_add_f64 v[2:3], v[4:5], v[2:3]
	v_mul_f64 v[4:5], v[214:215], s[30:31]
	v_add_f64 v[242:243], v[74:75], v[122:123]
	v_accvgpr_write_b32 a79, v5
	v_accvgpr_write_b32 a78, v4
	v_fma_f64 v[4:5], s[24:25], v[242:243], v[4:5]
	v_add_f64 v[206:207], v[74:75], -v[122:123]
	v_mul_f64 v[182:183], v[124:125], v[86:87]
	v_add_f64 v[0:1], v[4:5], v[0:1]
	v_mul_f64 v[4:5], v[206:207], s[30:31]
	v_mul_f64 v[10:11], v[138:139], v[102:103]
	v_fmac_f64_e32 v[182:183], v[126:127], v[84:85]
	v_add_f64 v[248:249], v[174:175], v[190:191]
	v_accvgpr_write_b32 a81, v5
	v_mul_f64 v[184:185], v[136:137], v[102:103]
	v_fma_f64 v[46:47], v[136:137], v[100:101], -v[10:11]
	v_accvgpr_write_b32 a80, v4
	v_fma_f64 v[4:5], v[248:249], s[24:25], -v[4:5]
	v_add_f64 v[136:137], v[182:183], -v[188:189]
	v_add_f64 v[4:5], v[4:5], v[2:3]
	v_mul_f64 v[2:3], v[136:137], s[34:35]
	v_accvgpr_write_b32 a65, v7
	v_add_f64 v[254:255], v[44:45], v[118:119]
	v_accvgpr_write_b32 a83, v3
	v_add_f64 v[200:201], v[44:45], -v[118:119]
	v_mul_f64 v[186:187], v[140:141], v[98:99]
	v_accvgpr_write_b32 a64, v6
	v_accvgpr_write_b32 a82, v2
	v_fma_f64 v[2:3], s[22:23], v[254:255], v[2:3]
	v_mul_f64 v[6:7], v[200:201], s[34:35]
	v_fmac_f64_e32 v[184:185], v[138:139], v[100:101]
	v_fmac_f64_e32 v[186:187], v[142:143], v[96:97]
	v_add_f64 v[0:1], v[2:3], v[0:1]
	v_add_f64 v[2:3], v[182:183], v[188:189]
	v_accvgpr_write_b32 a85, v7
	v_mul_f64 v[12:13], v[142:143], v[98:99]
	v_accvgpr_write_b32 a84, v6
	v_fma_f64 v[6:7], v[2:3], s[22:23], -v[6:7]
	v_add_f64 v[222:223], v[184:185], -v[186:187]
	v_fma_f64 v[76:77], v[140:141], v[96:97], -v[12:13]
	v_add_f64 v[4:5], v[6:7], v[4:5]
	v_mul_f64 v[6:7], v[222:223], s[38:39]
	v_add_f64 v[12:13], v[46:47], v[76:77]
	v_accvgpr_write_b32 a87, v7
	v_accvgpr_write_b32 a86, v6
	v_fma_f64 v[6:7], s[26:27], v[12:13], v[6:7]
	v_add_f64 v[140:141], v[46:47], -v[76:77]
	v_add_f64 v[124:125], v[6:7], v[0:1]
	v_mul_f64 v[0:1], v[140:141], s[38:39]
	v_add_f64 v[16:17], v[184:185], v[186:187]
	v_accvgpr_write_b32 a89, v1
	v_accvgpr_write_b32 a88, v0
	v_fma_f64 v[0:1], v[16:17], s[26:27], -v[0:1]
	v_mul_f64 v[236:237], v[120:121], s[14:15]
	v_add_f64 v[126:127], v[0:1], v[4:5]
	v_fma_f64 v[0:1], s[12:13], v[212:213], v[236:237]
	v_mul_f64 v[240:241], v[246:247], s[30:31]
	v_add_f64 v[0:1], v[108:109], v[0:1]
	v_fma_f64 v[4:5], s[24:25], v[224:225], v[240:241]
	v_mul_f64 v[252:253], v[218:219], s[14:15]
	v_add_f64 v[4:5], v[4:5], v[0:1]
	v_fma_f64 v[0:1], v[220:221], s[12:13], -v[252:253]
	v_accvgpr_write_b32 a67, v9
	v_add_f64 v[6:7], v[110:111], v[0:1]
	v_mul_f64 v[0:1], v[244:245], s[30:31]
	v_accvgpr_write_b32 a66, v8
	v_fma_f64 v[8:9], v[228:229], s[24:25], -v[0:1]
	v_mul_f64 v[250:251], v[34:35], s[38:39]
	v_add_f64 v[8:9], v[8:9], v[6:7]
	v_fma_f64 v[6:7], s[26:27], v[234:235], v[250:251]
	v_add_f64 v[4:5], v[6:7], v[4:5]
	v_mul_f64 v[6:7], v[20:21], s[38:39]
	v_fma_f64 v[10:11], v[238:239], s[26:27], -v[6:7]
	v_mul_f64 v[180:181], v[214:215], s[36:37]
	v_add_f64 v[10:11], v[10:11], v[8:9]
	v_fma_f64 v[8:9], s[22:23], v[242:243], v[180:181]
	v_add_f64 v[14:15], v[8:9], v[4:5]
	v_mul_f64 v[8:9], v[206:207], s[36:37]
	v_fma_f64 v[4:5], v[248:249], s[22:23], -v[8:9]
	v_add_f64 v[10:11], v[4:5], v[10:11]
	v_mul_f64 v[4:5], v[136:137], s[40:41]
	v_fma_f64 v[18:19], s[18:19], v[254:255], v[4:5]
	v_add_f64 v[18:19], v[18:19], v[14:15]
	v_mul_f64 v[14:15], v[200:201], s[40:41]
	v_fma_f64 v[22:23], v[2:3], s[18:19], -v[14:15]
	v_accvgpr_write_b32 a43, v27
	v_add_f64 v[22:23], v[22:23], v[10:11]
	v_mul_f64 v[10:11], v[222:223], s[42:43]
	v_accvgpr_write_b32 a42, v26
	v_accvgpr_write_b32 a41, v25
	;; [unrolled: 1-line block ×3, first 2 shown]
	v_fma_f64 v[24:25], s[0:1], v[12:13], v[10:11]
	v_add_f64 v[128:129], v[24:25], v[18:19]
	v_mul_f64 v[18:19], v[140:141], s[42:43]
	v_fma_f64 v[24:25], v[16:17], s[0:1], -v[18:19]
	v_add_f64 v[130:131], v[24:25], v[22:23]
	v_mul_f64 v[22:23], v[120:121], s[28:29]
	v_fma_f64 v[24:25], s[18:19], v[212:213], v[22:23]
	v_accvgpr_write_b32 a47, v31
	v_add_f64 v[26:27], v[108:109], v[24:25]
	v_mul_f64 v[24:25], v[246:247], s[38:39]
	v_accvgpr_write_b32 a46, v30
	v_accvgpr_write_b32 a45, v29
	;; [unrolled: 1-line block ×3, first 2 shown]
	v_fma_f64 v[28:29], s[26:27], v[224:225], v[24:25]
	v_add_f64 v[30:31], v[28:29], v[26:27]
	v_mul_f64 v[28:29], v[218:219], s[28:29]
	v_fma_f64 v[26:27], v[220:221], s[18:19], -v[28:29]
	v_mul_f64 v[32:33], v[244:245], s[38:39]
	v_add_f64 v[26:27], v[110:111], v[26:27]
	v_fma_f64 v[112:113], v[228:229], s[26:27], -v[32:33]
	v_add_f64 v[112:113], v[112:113], v[26:27]
	v_mul_f64 v[26:27], v[34:35], s[46:47]
	v_fma_f64 v[114:115], s[24:25], v[234:235], v[26:27]
	v_mul_f64 v[158:159], v[20:21], s[46:47]
	v_add_f64 v[114:115], v[114:115], v[30:31]
	v_fma_f64 v[30:31], v[238:239], s[24:25], -v[158:159]
	v_add_f64 v[112:113], v[30:31], v[112:113]
	v_mul_f64 v[30:31], v[214:215], s[42:43]
	v_fma_f64 v[116:117], s[0:1], v[242:243], v[30:31]
	v_mul_f64 v[208:209], v[206:207], s[42:43]
	v_add_f64 v[114:115], v[116:117], v[114:115]
	v_fma_f64 v[116:117], v[248:249], s[0:1], -v[208:209]
	v_mul_f64 v[156:157], v[136:137], s[14:15]
	v_add_f64 v[112:113], v[116:117], v[112:113]
	v_fma_f64 v[116:117], s[12:13], v[254:255], v[156:157]
	v_mul_f64 v[210:211], v[200:201], s[14:15]
	v_add_f64 v[114:115], v[116:117], v[114:115]
	v_fma_f64 v[116:117], v[2:3], s[12:13], -v[210:211]
	v_mul_f64 v[204:205], v[222:223], s[34:35]
	v_add_f64 v[112:113], v[116:117], v[112:113]
	;; [unrolled: 6-line block ×3, first 2 shown]
	v_fma_f64 v[112:113], s[24:25], v[212:213], v[196:197]
	v_mul_f64 v[198:199], v[246:247], s[36:37]
	v_add_f64 v[112:113], v[108:109], v[112:113]
	v_fma_f64 v[114:115], s[22:23], v[224:225], v[198:199]
	v_mul_f64 v[216:217], v[218:219], s[30:31]
	v_add_f64 v[112:113], v[114:115], v[112:113]
	v_fma_f64 v[114:115], v[220:221], s[24:25], -v[216:217]
	v_mul_f64 v[142:143], v[244:245], s[36:37]
	v_add_f64 v[114:115], v[110:111], v[114:115]
	v_fma_f64 v[116:117], v[228:229], s[22:23], -v[142:143]
	v_mul_f64 v[132:133], v[34:35], s[42:43]
	v_add_f64 v[114:115], v[116:117], v[114:115]
	v_fma_f64 v[116:117], s[0:1], v[234:235], v[132:133]
	v_mul_f64 v[146:147], v[20:21], s[42:43]
	v_add_f64 v[112:113], v[116:117], v[112:113]
	v_fma_f64 v[116:117], v[238:239], s[0:1], -v[146:147]
	v_mul_f64 v[134:135], v[214:215], s[28:29]
	v_add_f64 v[114:115], v[116:117], v[114:115]
	v_fma_f64 v[116:117], s[18:19], v[242:243], v[134:135]
	;; [unrolled: 6-line block ×4, first 2 shown]
	v_mul_f64 v[230:231], v[140:141], s[48:49]
	v_add_f64 v[160:161], v[116:117], v[112:113]
	v_fma_f64 v[112:113], v[16:17], s[12:13], -v[230:231]
	v_add_f64 v[162:163], v[112:113], v[114:115]
	v_mov_b32_e32 v153, 0
	s_and_saveexec_b64 s[20:21], vcc
	s_cbranch_execz .LBB0_5
; %bb.4:
	v_accvgpr_write_b32 a101, v67
	v_accvgpr_write_b32 a109, v55
	;; [unrolled: 1-line block ×3, first 2 shown]
	v_mul_f64 v[66:67], v[220:221], s[26:27]
	v_accvgpr_write_b32 a103, v73
	v_accvgpr_write_b32 a97, v47
	;; [unrolled: 1-line block ×3, first 2 shown]
	v_mul_f64 v[54:55], v[228:229], s[0:1]
	v_accvgpr_write_b32 a99, v65
	v_accvgpr_write_b32 a102, v72
	v_fma_f64 v[72:73], s[44:45], v[218:219], v[66:67]
	v_accvgpr_write_b32 a92, v122
	v_accvgpr_write_b32 a96, v46
	v_mul_f64 v[46:47], v[238:239], s[22:23]
	v_accvgpr_write_b32 a107, v53
	v_accvgpr_write_b32 a98, v64
	v_fma_f64 v[64:65], s[16:17], v[244:245], v[54:55]
	v_add_f64 v[72:73], v[110:111], v[72:73]
	v_accvgpr_write_b32 a90, v118
	v_accvgpr_write_b32 a93, v123
	v_mul_f64 v[122:123], v[248:249], s[12:13]
	v_accvgpr_write_b32 a95, v45
	v_accvgpr_write_b32 a106, v52
	v_fma_f64 v[52:53], s[36:37], v[20:21], v[46:47]
	v_add_f64 v[64:65], v[64:65], v[72:73]
	v_accvgpr_write_b32 a91, v119
	v_mul_f64 v[118:119], v[2:3], s[24:25]
	v_accvgpr_write_b32 a94, v44
	v_fma_f64 v[44:45], s[14:15], v[206:207], v[122:123]
	v_add_f64 v[52:53], v[52:53], v[64:65]
	v_mul_f64 v[116:117], v[16:17], s[18:19]
	v_fma_f64 v[114:115], s[46:47], v[200:201], v[118:119]
	v_add_f64 v[44:45], v[44:45], v[52:53]
	v_fma_f64 v[112:113], s[28:29], v[140:141], v[116:117]
	v_add_f64 v[44:45], v[114:115], v[44:45]
	v_mov_b32_e32 v152, v232
	v_mov_b32_e32 v165, v233
	v_mul_f64 v[232:233], v[120:121], s[38:39]
	v_add_f64 v[114:115], v[112:113], v[44:45]
	v_mul_f64 v[72:73], v[246:247], s[42:43]
	v_accvgpr_write_b32 a105, v75
	v_fma_f64 v[112:113], s[26:27], v[212:213], v[232:233]
	v_fmac_f64_e32 v[66:67], s[38:39], v[218:219]
	v_mul_f64 v[64:65], v[34:35], s[34:35]
	v_accvgpr_write_b32 a104, v74
	v_fma_f64 v[74:75], s[0:1], v[224:225], v[72:73]
	v_add_f64 v[112:113], v[108:109], v[112:113]
	v_fmac_f64_e32 v[54:55], s[42:43], v[244:245]
	v_add_f64 v[66:67], v[110:111], v[66:67]
	v_mul_f64 v[52:53], v[214:215], s[48:49]
	v_add_f64 v[74:75], v[74:75], v[112:113]
	v_fma_f64 v[112:113], s[22:23], v[234:235], v[64:65]
	v_fmac_f64_e32 v[46:47], s[34:35], v[20:21]
	v_add_f64 v[54:55], v[54:55], v[66:67]
	v_mul_f64 v[44:45], v[136:137], s[30:31]
	v_add_f64 v[74:75], v[112:113], v[74:75]
	v_fma_f64 v[112:113], s[12:13], v[242:243], v[52:53]
	v_accvgpr_write_b32 a111, v77
	v_fmac_f64_e32 v[122:123], s[48:49], v[206:207]
	v_add_f64 v[46:47], v[46:47], v[54:55]
	v_add_f64 v[74:75], v[112:113], v[74:75]
	v_fma_f64 v[112:113], s[24:25], v[254:255], v[44:45]
	v_accvgpr_write_b32 a110, v76
	v_mul_f64 v[76:77], v[222:223], s[40:41]
	v_fmac_f64_e32 v[118:119], s[30:31], v[200:201]
	v_add_f64 v[46:47], v[122:123], v[46:47]
	v_add_f64 v[74:75], v[112:113], v[74:75]
	v_accvgpr_write_b32 a62, v78
	v_fma_f64 v[78:79], s[18:19], v[12:13], v[76:77]
	v_fmac_f64_e32 v[116:117], s[40:41], v[140:141]
	v_add_f64 v[46:47], v[118:119], v[46:47]
	v_fma_f64 v[66:67], v[212:213], s[26:27], -v[232:233]
	v_add_f64 v[112:113], v[78:79], v[74:75]
	v_mul_f64 v[74:75], v[212:213], s[0:1]
	v_add_f64 v[118:119], v[116:117], v[46:47]
	v_fma_f64 v[46:47], v[12:13], s[18:19], -v[76:77]
	v_fma_f64 v[54:55], v[234:235], s[22:23], -v[64:65]
	;; [unrolled: 1-line block ×3, first 2 shown]
	v_add_f64 v[66:67], v[108:109], v[66:67]
	v_mul_f64 v[76:77], v[220:221], s[22:23]
	v_accvgpr_write_b32 a113, v75
	v_add_f64 v[64:65], v[64:65], v[66:67]
	v_mul_f64 v[72:73], v[228:229], s[18:19]
	v_fma_f64 v[78:79], s[36:37], v[218:219], v[76:77]
	v_accvgpr_write_b32 a112, v74
	v_fma_f64 v[52:53], v[242:243], s[12:13], -v[52:53]
	v_add_f64 v[54:55], v[54:55], v[64:65]
	v_mul_f64 v[66:67], v[238:239], s[12:13]
	v_fma_f64 v[74:75], s[28:29], v[244:245], v[72:73]
	v_add_f64 v[78:79], v[110:111], v[78:79]
	v_fma_f64 v[44:45], v[254:255], s[24:25], -v[44:45]
	v_add_f64 v[52:53], v[52:53], v[54:55]
	v_mul_f64 v[64:65], v[248:249], s[26:27]
	v_add_f64 v[74:75], v[74:75], v[78:79]
	v_fma_f64 v[78:79], s[48:49], v[20:21], v[66:67]
	v_add_f64 v[44:45], v[44:45], v[52:53]
	v_mul_f64 v[52:53], v[2:3], s[0:1]
	v_add_f64 v[74:75], v[78:79], v[74:75]
	v_fma_f64 v[78:79], s[38:39], v[206:207], v[64:65]
	v_fma_f64 v[54:55], s[16:17], v[200:201], v[52:53]
	v_add_f64 v[74:75], v[78:79], v[74:75]
	v_add_f64 v[116:117], v[46:47], v[44:45]
	v_mul_f64 v[44:45], v[16:17], s[24:25]
	v_add_f64 v[54:55], v[54:55], v[74:75]
	v_mul_f64 v[74:75], v[214:215], s[44:45]
	v_mul_f64 v[214:215], v[120:121], s[34:35]
	v_fma_f64 v[46:47], s[46:47], v[140:141], v[44:45]
	v_mul_f64 v[78:79], v[246:247], s[40:41]
	v_fma_f64 v[120:121], s[22:23], v[212:213], v[214:215]
	v_add_f64 v[122:123], v[46:47], v[54:55]
	v_mul_f64 v[54:55], v[136:137], s[42:43]
	v_mul_f64 v[34:35], v[34:35], s[14:15]
	v_fma_f64 v[136:137], s[18:19], v[224:225], v[78:79]
	v_add_f64 v[120:121], v[108:109], v[120:121]
	v_fmac_f64_e32 v[76:77], s[34:35], v[218:219]
	v_add_f64 v[120:121], v[136:137], v[120:121]
	v_fma_f64 v[136:137], s[12:13], v[234:235], v[34:35]
	v_fmac_f64_e32 v[72:73], s[40:41], v[244:245]
	v_add_f64 v[76:77], v[110:111], v[76:77]
	v_add_f64 v[120:121], v[136:137], v[120:121]
	v_fma_f64 v[136:137], s[26:27], v[242:243], v[74:75]
	v_fmac_f64_e32 v[66:67], s[14:15], v[20:21]
	v_add_f64 v[72:73], v[72:73], v[76:77]
	v_mul_f64 v[46:47], v[222:223], s[30:31]
	v_add_f64 v[120:121], v[136:137], v[120:121]
	v_fma_f64 v[136:137], s[0:1], v[254:255], v[54:55]
	v_mul_f64 v[222:223], v[212:213], s[12:13]
	v_fmac_f64_e32 v[52:53], s[42:43], v[200:201]
	v_mul_f64 v[200:201], v[212:213], s[18:19]
	v_fmac_f64_e32 v[64:65], s[44:45], v[206:207]
	v_mul_f64 v[20:21], v[212:213], s[24:25]
	v_add_f64 v[66:67], v[66:67], v[72:73]
	v_fma_f64 v[212:213], v[212:213], s[22:23], -v[214:215]
	v_add_f64 v[120:121], v[136:137], v[120:121]
	v_fma_f64 v[136:137], s[24:25], v[12:13], v[46:47]
	v_add_f64 v[64:65], v[64:65], v[66:67]
	v_fma_f64 v[78:79], v[224:225], s[18:19], -v[78:79]
	v_add_f64 v[212:213], v[108:109], v[212:213]
	v_add_f64 v[120:121], v[136:137], v[120:121]
	v_mul_f64 v[136:137], v[220:221], s[0:1]
	v_fmac_f64_e32 v[44:45], s[30:31], v[140:141]
	v_mul_f64 v[140:141], v[220:221], s[12:13]
	v_mul_f64 v[206:207], v[220:221], s[18:19]
	;; [unrolled: 1-line block ×3, first 2 shown]
	v_add_f64 v[52:53], v[52:53], v[64:65]
	v_add_f64 v[78:79], v[78:79], v[212:213]
	v_fma_f64 v[34:35], v[234:235], s[12:13], -v[34:35]
	v_mul_f64 v[218:219], v[228:229], s[12:13]
	v_mul_f64 v[72:73], v[228:229], s[24:25]
	;; [unrolled: 1-line block ×4, first 2 shown]
	v_add_f64 v[34:35], v[34:35], v[78:79]
	v_fma_f64 v[74:75], v[242:243], s[26:27], -v[74:75]
	v_add_f64 v[214:215], v[44:45], v[52:53]
	v_mul_f64 v[52:53], v[16:17], s[12:13]
	v_add_f64 v[216:217], v[216:217], v[220:221]
	v_add_f64 v[34:35], v[74:75], v[34:35]
	v_fma_f64 v[54:55], v[254:255], s[0:1], -v[54:55]
	v_fma_f64 v[44:45], v[12:13], s[24:25], -v[46:47]
	v_mul_f64 v[46:47], v[238:239], s[0:1]
	v_add_f64 v[52:53], v[230:231], v[52:53]
	v_mul_f64 v[230:231], v[2:3], s[26:27]
	v_add_f64 v[142:143], v[142:143], v[228:229]
	v_add_f64 v[216:217], v[110:111], v[216:217]
	v_add_f64 v[34:35], v[54:55], v[34:35]
	v_add_f64 v[226:227], v[226:227], v[230:231]
	v_mul_f64 v[230:231], v[248:249], s[18:19]
	v_add_f64 v[46:47], v[146:147], v[46:47]
	v_add_f64 v[142:143], v[142:143], v[216:217]
	v_mul_f64 v[232:233], v[224:225], s[12:13]
	v_mul_f64 v[76:77], v[224:225], s[24:25]
	;; [unrolled: 1-line block ×4, first 2 shown]
	v_add_f64 v[212:213], v[44:45], v[34:35]
	v_mul_f64 v[44:45], v[234:235], s[0:1]
	v_add_f64 v[154:155], v[154:155], v[230:231]
	v_add_f64 v[46:47], v[46:47], v[142:143]
	v_add_f64 v[20:21], v[20:21], -v[196:197]
	v_add_f64 v[46:47], v[154:155], v[46:47]
	v_add_f64 v[44:45], v[44:45], -v[132:133]
	v_add_f64 v[132:133], v[224:225], -v[198:199]
	v_add_f64 v[20:21], v[108:109], v[20:21]
	v_mul_f64 v[246:247], v[238:239], s[18:19]
	v_mul_f64 v[74:75], v[238:239], s[26:27]
	;; [unrolled: 1-line block ×4, first 2 shown]
	v_add_f64 v[46:47], v[226:227], v[46:47]
	v_mul_f64 v[226:227], v[12:13], s[12:13]
	v_add_f64 v[20:21], v[132:133], v[20:21]
	v_add_f64 v[144:145], v[226:227], -v[144:145]
	v_mul_f64 v[226:227], v[254:255], s[26:27]
	v_add_f64 v[238:239], v[238:239], -v[134:135]
	v_add_f64 v[20:21], v[44:45], v[20:21]
	v_add_f64 v[28:29], v[28:29], v[206:207]
	v_add_f64 v[138:139], v[226:227], -v[138:139]
	v_add_f64 v[20:21], v[238:239], v[20:21]
	v_add_f64 v[32:33], v[32:33], v[64:65]
	;; [unrolled: 1-line block ×3, first 2 shown]
	v_mul_f64 v[244:245], v[234:235], s[18:19]
	v_mul_f64 v[78:79], v[234:235], s[26:27]
	v_mul_f64 v[54:55], v[234:235], s[24:25]
	v_mul_f64 v[234:235], v[248:249], s[0:1]
	v_add_f64 v[20:21], v[138:139], v[20:21]
	v_add_f64 v[34:35], v[158:159], v[34:35]
	;; [unrolled: 1-line block ×3, first 2 shown]
	v_mul_f64 v[230:231], v[242:243], s[24:25]
	v_mul_f64 v[228:229], v[242:243], s[22:23]
	;; [unrolled: 1-line block ×6, first 2 shown]
	v_add_f64 v[132:133], v[144:145], v[20:21]
	v_add_f64 v[20:21], v[208:209], v[234:235]
	;; [unrolled: 1-line block ×3, first 2 shown]
	v_add_f64 v[22:23], v[200:201], -v[22:23]
	v_mul_f64 v[198:199], v[16:17], s[26:27]
	v_mul_f64 v[224:225], v[16:17], s[0:1]
	;; [unrolled: 1-line block ×3, first 2 shown]
	v_add_f64 v[2:3], v[210:211], v[2:3]
	v_add_f64 v[20:21], v[20:21], v[28:29]
	v_add_f64 v[24:25], v[66:67], -v[24:25]
	v_add_f64 v[22:23], v[108:109], v[22:23]
	v_add_f64 v[16:17], v[166:167], v[16:17]
	;; [unrolled: 1-line block ×3, first 2 shown]
	v_add_f64 v[20:21], v[54:55], -v[26:27]
	v_add_f64 v[22:23], v[24:25], v[22:23]
	v_mul_f64 v[146:147], v[248:249], s[24:25]
	v_mul_f64 v[220:221], v[248:249], s[22:23]
	;; [unrolled: 1-line block ×8, first 2 shown]
	v_add_f64 v[28:29], v[16:17], v[2:3]
	v_add_f64 v[16:17], v[216:217], -v[30:31]
	v_add_f64 v[20:21], v[20:21], v[22:23]
	v_add_f64 v[2:3], v[12:13], -v[204:205]
	v_add_f64 v[12:13], v[248:249], -v[156:157]
	v_add_f64 v[16:17], v[16:17], v[20:21]
	v_add_f64 v[12:13], v[12:13], v[16:17]
	;; [unrolled: 1-line block ×14, first 2 shown]
	v_add_f64 v[12:13], v[222:223], -v[236:237]
	v_add_f64 v[2:3], v[2:3], v[0:1]
	v_add_f64 v[0:1], v[196:197], -v[10:11]
	v_add_f64 v[10:11], v[76:77], -v[240:241]
	v_add_f64 v[12:13], v[108:109], v[12:13]
	v_accvgpr_read_b32 v14, a70
	v_add_f64 v[8:9], v[78:79], -v[250:251]
	v_add_f64 v[10:11], v[10:11], v[12:13]
	v_accvgpr_read_b32 v12, a72
	v_accvgpr_read_b32 v15, a71
	v_add_f64 v[6:7], v[228:229], -v[180:181]
	v_add_f64 v[8:9], v[8:9], v[10:11]
	v_accvgpr_read_b32 v10, a76
	v_accvgpr_read_b32 v13, a73
	v_add_f64 v[14:15], v[14:15], v[136:137]
	v_add_f64 v[4:5], v[226:227], -v[4:5]
	v_add_f64 v[6:7], v[6:7], v[8:9]
	v_accvgpr_read_b32 v8, a80
	v_accvgpr_read_b32 v11, a77
	v_add_f64 v[12:13], v[12:13], v[218:219]
	v_add_f64 v[14:15], v[110:111], v[14:15]
	v_accvgpr_read_b32 v16, a106
	v_accvgpr_read_b32 v18, a112
	v_add_f64 v[4:5], v[4:5], v[6:7]
	v_accvgpr_read_b32 v6, a84
	v_accvgpr_read_b32 v9, a81
	v_add_f64 v[10:11], v[10:11], v[246:247]
	v_add_f64 v[12:13], v[12:13], v[14:15]
	v_accvgpr_read_b32 v14, a108
	v_accvgpr_read_b32 v17, a107
	;; [unrolled: 1-line block ×3, first 2 shown]
	v_add_f64 v[0:1], v[0:1], v[4:5]
	v_accvgpr_read_b32 v4, a88
	v_accvgpr_read_b32 v7, a85
	v_add_f64 v[8:9], v[8:9], v[146:147]
	v_add_f64 v[10:11], v[10:11], v[12:13]
	v_accvgpr_read_b32 v12, a74
	v_accvgpr_read_b32 v15, a109
	v_add_f64 v[16:17], v[18:19], -v[16:17]
	v_accvgpr_read_b32 v5, a89
	v_add_f64 v[6:7], v[6:7], v[154:155]
	v_add_f64 v[8:9], v[8:9], v[10:11]
	v_accvgpr_read_b32 v10, a78
	v_accvgpr_read_b32 v13, a75
	v_add_f64 v[14:15], v[232:233], -v[14:15]
	v_add_f64 v[16:17], v[108:109], v[16:17]
	v_add_f64 v[4:5], v[4:5], v[198:199]
	;; [unrolled: 1-line block ×3, first 2 shown]
	v_accvgpr_read_b32 v8, a82
	v_accvgpr_read_b32 v11, a79
	v_add_f64 v[12:13], v[244:245], -v[12:13]
	v_add_f64 v[14:15], v[14:15], v[16:17]
	v_add_f64 v[6:7], v[4:5], v[6:7]
	v_accvgpr_read_b32 v4, a86
	v_accvgpr_read_b32 v9, a83
	v_add_f64 v[10:11], v[230:231], -v[10:11]
	v_add_f64 v[12:13], v[12:13], v[14:15]
	v_accvgpr_read_b32 v5, a87
	v_add_f64 v[8:9], v[142:143], -v[8:9]
	v_add_f64 v[10:11], v[10:11], v[12:13]
	v_add_f64 v[4:5], v[254:255], -v[4:5]
	v_add_f64 v[8:9], v[8:9], v[10:11]
	v_add_f64 v[4:5], v[4:5], v[8:9]
	;; [unrolled: 1-line block ×14, first 2 shown]
	v_accvgpr_read_b32 v8, a98
	v_accvgpr_read_b32 v9, a99
	;; [unrolled: 1-line block ×3, first 2 shown]
	v_add_f64 v[8:9], v[108:109], v[8:9]
	v_accvgpr_read_b32 v13, a101
	v_add_f64 v[8:9], v[8:9], v[12:13]
	v_accvgpr_read_b32 v12, a102
	v_accvgpr_read_b32 v13, a103
	v_add_f64 v[8:9], v[8:9], v[12:13]
	v_accvgpr_read_b32 v12, a104
	;; [unrolled: 3-line block ×10, first 2 shown]
	v_mov_b32_e32 v233, v165
	v_accvgpr_read_b32 v13, a69
	v_add_f64 v[8:9], v[8:9], v[12:13]
	v_mul_u32_u24_e32 v12, 0x75, v233
	v_accvgpr_read_b32 v13, a36
	v_accvgpr_read_b32 v78, a62
	v_mov_b32_e32 v232, v152
	v_add_lshl_u32 v12, v12, v13, 4
	v_add_f64 v[134:135], v[52:53], v[46:47]
	ds_write_b128 v12, v[8:11]
	ds_write_b128 v12, v[4:7] offset:144
	ds_write_b128 v12, v[0:3] offset:288
	;; [unrolled: 1-line block ×12, first 2 shown]
.LBB0_5:
	s_or_b64 exec, exec, s[20:21]
	s_mov_b32 s0, 0x8c09
	v_lshlrev_b32_e32 v152, 4, v178
	v_mul_u32_u24_sdwa v2, v164, s0 dst_sel:DWORD dst_unused:UNUSED_PAD src0_sel:WORD_0 src1_sel:DWORD
	v_lshl_add_u64 v[168:169], s[8:9], 0, v[152:153]
	v_lshlrev_b32_e32 v152, 5, v178
	v_lshrrev_b32_e32 v2, 22, v2
	s_waitcnt lgkmcnt(0)
	s_barrier
	global_load_dwordx4 v[112:115], v152, s[10:11] offset:1824
	global_load_dwordx4 v[108:111], v152, s[10:11] offset:1840
	v_mul_lo_u16_e32 v2, 0x75, v2
	v_sub_u16_e32 v76, v164, v2
	v_lshl_add_u64 v[0:1], s[10:11], 0, v[152:153]
	v_lshlrev_b16_e32 v152, 5, v76
	v_lshl_add_u64 v[2:3], s[10:11], 0, v[152:153]
	global_load_dwordx4 v[120:123], v[2:3], off offset:1824
	global_load_dwordx4 v[116:119], v[2:3], off offset:1840
	ds_read_b128 v[2:5], v176
	ds_read_b128 v[6:9], v176 offset:1872
	ds_read_b128 v[10:13], v176 offset:11232
	;; [unrolled: 1-line block ×8, first 2 shown]
	s_mov_b32 s8, 0xe8584caa
	s_mov_b32 s9, 0x3febb67a
	;; [unrolled: 1-line block ×4, first 2 shown]
	s_mov_b64 s[14:15], 0x15c0
	s_movk_i32 s16, 0x1000
	s_waitcnt lgkmcnt(0)
	s_barrier
	v_lshlrev_b32_e32 v180, 4, v76
	v_lshlrev_b32_e32 v152, 5, v78
	s_waitcnt vmcnt(3)
	v_mul_f64 v[44:45], v[18:19], v[114:115]
	s_waitcnt vmcnt(2)
	v_mul_f64 v[52:53], v[10:11], v[110:111]
	v_mul_f64 v[34:35], v[20:21], v[114:115]
	;; [unrolled: 1-line block ×5, first 2 shown]
	v_fmac_f64_e32 v[44:45], v[20:21], v[112:113]
	v_fmac_f64_e32 v[52:53], v[12:13], v[108:109]
	v_mul_f64 v[64:65], v[26:27], v[114:115]
	v_mul_f64 v[72:73], v[14:15], v[110:111]
	v_fma_f64 v[18:19], v[18:19], v[112:113], -v[34:35]
	v_fma_f64 v[10:11], v[10:11], v[108:109], -v[46:47]
	;; [unrolled: 1-line block ×4, first 2 shown]
	v_add_f64 v[34:35], v[44:45], v[52:53]
	v_fmac_f64_e32 v[64:65], v[28:29], v[112:113]
	v_add_f64 v[20:21], v[18:19], v[10:11]
	v_add_f64 v[26:27], v[44:45], -v[52:53]
	v_add_f64 v[28:29], v[4:5], v[44:45]
	v_add_f64 v[44:45], v[18:19], -v[10:11]
	v_add_f64 v[46:47], v[12:13], v[14:15]
	v_fmac_f64_e32 v[4:5], -0.5, v[34:35]
	v_fmac_f64_e32 v[72:73], v[16:17], v[108:109]
	v_add_f64 v[16:17], v[2:3], v[18:19]
	v_add_f64 v[18:19], v[6:7], v[12:13]
	v_add_f64 v[74:75], v[12:13], -v[14:15]
	v_fmac_f64_e32 v[2:3], -0.5, v[20:21]
	v_add_f64 v[12:13], v[28:29], v[52:53]
	v_fmac_f64_e32 v[6:7], -0.5, v[46:47]
	v_fma_f64 v[20:21], s[12:13], v[44:45], v[4:5]
	v_fmac_f64_e32 v[4:5], s[8:9], v[44:45]
	s_waitcnt vmcnt(1)
	v_mul_f64 v[34:35], v[32:33], v[122:123]
	v_mul_f64 v[44:45], v[30:31], v[122:123]
	s_waitcnt vmcnt(0)
	v_mul_f64 v[46:47], v[134:135], v[118:119]
	v_mul_f64 v[52:53], v[132:133], v[118:119]
	v_add_f64 v[54:55], v[64:65], -v[72:73]
	v_add_f64 v[66:67], v[8:9], v[64:65]
	v_add_f64 v[64:65], v[64:65], v[72:73]
	v_fma_f64 v[34:35], v[30:31], v[120:121], -v[34:35]
	v_fmac_f64_e32 v[44:45], v[32:33], v[120:121]
	v_fma_f64 v[46:47], v[132:133], v[116:117], -v[46:47]
	v_fmac_f64_e32 v[52:53], v[134:135], v[116:117]
	v_add_f64 v[10:11], v[16:17], v[10:11]
	v_add_f64 v[14:15], v[18:19], v[14:15]
	v_fmac_f64_e32 v[8:9], -0.5, v[64:65]
	v_fma_f64 v[18:19], s[8:9], v[26:27], v[2:3]
	v_fmac_f64_e32 v[2:3], s[12:13], v[26:27]
	v_fma_f64 v[26:27], s[8:9], v[54:55], v[6:7]
	v_fmac_f64_e32 v[6:7], s[12:13], v[54:55]
	v_add_f64 v[32:33], v[34:35], v[46:47]
	v_add_f64 v[54:55], v[44:45], -v[52:53]
	v_add_f64 v[64:65], v[24:25], v[44:45]
	v_add_f64 v[44:45], v[44:45], v[52:53]
	;; [unrolled: 1-line block ×3, first 2 shown]
	v_fma_f64 v[28:29], s[12:13], v[74:75], v[8:9]
	v_fmac_f64_e32 v[8:9], s[8:9], v[74:75]
	v_add_f64 v[30:31], v[22:23], v[34:35]
	v_fmac_f64_e32 v[22:23], -0.5, v[32:33]
	v_fmac_f64_e32 v[24:25], -0.5, v[44:45]
	v_add_f64 v[34:35], v[34:35], -v[46:47]
	ds_write_b128 v176, v[10:13]
	ds_write_b128 v176, v[18:21] offset:1872
	ds_write_b128 v176, v[2:5] offset:3744
	;; [unrolled: 1-line block ×5, first 2 shown]
	v_lshl_add_u64 v[2:3], v[0:1], 0, s[14:15]
	v_add_co_u32_e64 v0, s[0:1], s16, v0
	v_add_f64 v[30:31], v[30:31], v[46:47]
	v_add_f64 v[32:33], v[64:65], v[52:53]
	v_fma_f64 v[132:133], s[8:9], v[54:55], v[22:23]
	v_fma_f64 v[134:135], s[12:13], v[34:35], v[24:25]
	v_addc_co_u32_e64 v1, s[0:1], 0, v1, s[0:1]
	v_fmac_f64_e32 v[22:23], s[12:13], v[54:55]
	v_fmac_f64_e32 v[24:25], s[8:9], v[34:35]
	ds_write_b128 v180, v[30:33] offset:11232
	ds_write_b128 v180, v[132:135] offset:13104
	;; [unrolled: 1-line block ×3, first 2 shown]
	s_waitcnt lgkmcnt(0)
	s_barrier
	global_load_dwordx4 v[132:135], v[0:1], off offset:1472
	global_load_dwordx4 v[136:139], v[2:3], off offset:16
	v_lshl_add_u64 v[0:1], s[10:11], 0, v[152:153]
	v_lshl_add_u64 v[2:3], v[0:1], 0, s[14:15]
	v_add_co_u32_e64 v0, s[0:1], s16, v0
	v_lshlrev_b32_e32 v152, 5, v164
	s_nop 0
	v_addc_co_u32_e64 v1, s[0:1], 0, v1, s[0:1]
	global_load_dwordx4 v[140:143], v[0:1], off offset:1472
	global_load_dwordx4 v[144:147], v[2:3], off offset:16
	v_lshl_add_u64 v[0:1], s[10:11], 0, v[152:153]
	v_add_co_u32_e64 v2, s[0:1], s16, v0
	s_nop 1
	v_addc_co_u32_e64 v3, s[0:1], 0, v1, s[0:1]
	v_lshl_add_u64 v[0:1], v[0:1], 0, s[14:15]
	global_load_dwordx4 v[152:155], v[2:3], off offset:1472
	global_load_dwordx4 v[156:159], v[0:1], off offset:16
	ds_read_b128 v[0:3], v176
	ds_read_b128 v[4:7], v176 offset:1872
	ds_read_b128 v[8:11], v176 offset:11232
	;; [unrolled: 1-line block ×8, first 2 shown]
	s_movk_i32 s0, 0x4000
	s_waitcnt vmcnt(5) lgkmcnt(4)
	v_mul_f64 v[44:45], v[18:19], v[134:135]
	v_mul_f64 v[46:47], v[16:17], v[134:135]
	s_waitcnt vmcnt(4)
	v_mul_f64 v[52:53], v[10:11], v[138:139]
	v_mul_f64 v[54:55], v[8:9], v[138:139]
	v_fma_f64 v[16:17], v[16:17], v[132:133], -v[44:45]
	v_fmac_f64_e32 v[46:47], v[18:19], v[132:133]
	v_fma_f64 v[18:19], v[8:9], v[136:137], -v[52:53]
	v_fmac_f64_e32 v[54:55], v[10:11], v[136:137]
	s_waitcnt vmcnt(3) lgkmcnt(2)
	v_mul_f64 v[64:65], v[26:27], v[142:143]
	v_mul_f64 v[66:67], v[24:25], v[142:143]
	s_waitcnt vmcnt(2)
	v_mul_f64 v[72:73], v[14:15], v[146:147]
	v_mul_f64 v[74:75], v[12:13], v[146:147]
	v_add_f64 v[10:11], v[16:17], v[18:19]
	v_fma_f64 v[44:45], v[24:25], v[140:141], -v[64:65]
	v_fmac_f64_e32 v[66:67], v[26:27], v[140:141]
	v_fma_f64 v[26:27], v[12:13], v[144:145], -v[72:73]
	v_fmac_f64_e32 v[74:75], v[14:15], v[144:145]
	v_add_f64 v[8:9], v[0:1], v[16:17]
	v_fmac_f64_e32 v[0:1], -0.5, v[10:11]
	v_add_f64 v[10:11], v[46:47], -v[54:55]
	v_add_f64 v[14:15], v[46:47], v[54:55]
	s_waitcnt vmcnt(1) lgkmcnt(1)
	v_mul_f64 v[76:77], v[30:31], v[154:155]
	s_waitcnt vmcnt(0) lgkmcnt(0)
	v_mul_f64 v[164:165], v[34:35], v[158:159]
	v_add_f64 v[8:9], v[8:9], v[18:19]
	v_fma_f64 v[12:13], s[8:9], v[10:11], v[0:1]
	v_fmac_f64_e32 v[0:1], s[12:13], v[10:11]
	v_add_f64 v[10:11], v[2:3], v[46:47]
	v_fmac_f64_e32 v[2:3], -0.5, v[14:15]
	v_add_f64 v[16:17], v[16:17], -v[18:19]
	v_add_f64 v[18:19], v[44:45], v[26:27]
	v_mul_f64 v[78:79], v[28:29], v[154:155]
	v_mul_f64 v[166:167], v[32:33], v[158:159]
	v_fma_f64 v[52:53], v[28:29], v[152:153], -v[76:77]
	v_fma_f64 v[64:65], v[32:33], v[156:157], -v[164:165]
	v_fma_f64 v[14:15], s[12:13], v[16:17], v[2:3]
	v_fmac_f64_e32 v[2:3], s[8:9], v[16:17]
	v_add_f64 v[16:17], v[4:5], v[44:45]
	v_fmac_f64_e32 v[4:5], -0.5, v[18:19]
	v_add_f64 v[18:19], v[66:67], -v[74:75]
	v_add_f64 v[28:29], v[66:67], v[74:75]
	v_fmac_f64_e32 v[78:79], v[30:31], v[152:153]
	v_fmac_f64_e32 v[166:167], v[34:35], v[156:157]
	v_fma_f64 v[24:25], s[8:9], v[18:19], v[4:5]
	v_fmac_f64_e32 v[4:5], s[12:13], v[18:19]
	v_add_f64 v[18:19], v[6:7], v[66:67]
	v_fmac_f64_e32 v[6:7], -0.5, v[28:29]
	v_add_f64 v[28:29], v[44:45], -v[26:27]
	v_add_f64 v[30:31], v[52:53], v[64:65]
	v_add_f64 v[16:17], v[16:17], v[26:27]
	v_fma_f64 v[26:27], s[12:13], v[28:29], v[6:7]
	v_fmac_f64_e32 v[6:7], s[8:9], v[28:29]
	v_add_f64 v[28:29], v[20:21], v[52:53]
	v_fmac_f64_e32 v[20:21], -0.5, v[30:31]
	v_add_f64 v[30:31], v[78:79], -v[166:167]
	v_add_f64 v[34:35], v[78:79], v[166:167]
	v_add_f64 v[10:11], v[10:11], v[54:55]
	;; [unrolled: 7-line block ×3, first 2 shown]
	v_add_f64 v[30:31], v[30:31], v[166:167]
	v_fma_f64 v[34:35], s[12:13], v[44:45], v[22:23]
	v_fmac_f64_e32 v[22:23], s[8:9], v[44:45]
	ds_write_b128 v176, v[8:11]
	ds_write_b128 v176, v[12:15] offset:5616
	ds_write_b128 v176, v[0:3] offset:11232
	;; [unrolled: 1-line block ×8, first 2 shown]
	v_add_co_u32_e64 v0, s[0:1], s0, v168
	s_waitcnt lgkmcnt(0)
	s_nop 0
	v_addc_co_u32_e64 v1, s[0:1], 0, v169, s[0:1]
	s_movk_i32 s0, 0x5000
	s_barrier
	global_load_dwordx4 v[164:167], v[0:1], off offset:464
	v_add_co_u32_e64 v12, s[0:1], s0, v168
	s_nop 1
	v_addc_co_u32_e64 v13, s[0:1], 0, v169, s[0:1]
	s_movk_i32 s0, 0x6000
	s_nop 0
	v_add_co_u32_e64 v24, s[0:1], s0, v168
	s_nop 1
	v_addc_co_u32_e64 v25, s[0:1], 0, v169, s[0:1]
	global_load_dwordx4 v[4:7], v[24:25], off offset:3504
	global_load_dwordx4 v[0:3], v[12:13], off offset:1984
	s_mov_b64 s[0:1], 0x41d0
	v_lshl_add_u64 v[20:21], v[168:169], 0, s[0:1]
	global_load_dwordx4 v[8:11], v[20:21], off offset:1872
	s_nop 0
	global_load_dwordx4 v[12:15], v[12:13], off offset:3856
	s_movk_i32 s0, 0x7000
	v_add_co_u32_e64 v28, s[0:1], s0, v168
	s_nop 1
	v_addc_co_u32_e64 v29, s[0:1], 0, v169, s[0:1]
	global_load_dwordx4 v[16:19], v[28:29], off offset:1280
	s_nop 0
	global_load_dwordx4 v[20:23], v[20:21], off offset:3744
	s_nop 0
	;; [unrolled: 2-line block ×3, first 2 shown]
	global_load_dwordx4 v[28:31], v[28:29], off offset:3152
	ds_read_b128 v[32:35], v176
	ds_read_b128 v[168:171], v176 offset:1872
	ds_read_b128 v[182:185], v176 offset:5616
	s_waitcnt vmcnt(8) lgkmcnt(2)
	v_mul_f64 v[44:45], v[34:35], v[166:167]
	v_mul_f64 v[174:175], v[32:33], v[166:167]
	v_fma_f64 v[172:173], v[32:33], v[164:165], -v[44:45]
	v_fmac_f64_e32 v[174:175], v[34:35], v[164:165]
	ds_read_b128 v[32:35], v176 offset:3744
	ds_write_b128 v176, v[172:175]
	ds_read_b128 v[172:175], v176 offset:11232
	s_waitcnt vmcnt(6) lgkmcnt(3)
	v_mul_f64 v[44:45], v[184:185], v[2:3]
	v_mul_f64 v[166:167], v[182:183], v[2:3]
	v_fma_f64 v[164:165], v[182:183], v[0:1], -v[44:45]
	v_fmac_f64_e32 v[166:167], v[184:185], v[0:1]
	ds_read_b128 v[0:3], v176 offset:13104
	ds_write_b128 v176, v[164:167] offset:5616
	s_waitcnt lgkmcnt(2)
	v_mul_f64 v[44:45], v[174:175], v[6:7]
	v_mul_f64 v[166:167], v[172:173], v[6:7]
	v_fma_f64 v[164:165], v[172:173], v[4:5], -v[44:45]
	v_fmac_f64_e32 v[166:167], v[174:175], v[4:5]
	ds_write_b128 v176, v[164:167] offset:11232
	ds_read_b128 v[164:167], v176 offset:7488
	s_waitcnt vmcnt(5)
	v_mul_f64 v[4:5], v[170:171], v[10:11]
	v_mul_f64 v[6:7], v[168:169], v[10:11]
	v_fma_f64 v[4:5], v[168:169], v[8:9], -v[4:5]
	v_fmac_f64_e32 v[6:7], v[170:171], v[8:9]
	ds_write_b128 v176, v[4:7] offset:1872
	ds_read_b128 v[4:7], v176 offset:9360
	s_waitcnt vmcnt(4) lgkmcnt(2)
	v_mul_f64 v[8:9], v[166:167], v[14:15]
	v_mul_f64 v[10:11], v[164:165], v[14:15]
	v_fma_f64 v[8:9], v[164:165], v[12:13], -v[8:9]
	v_fmac_f64_e32 v[10:11], v[166:167], v[12:13]
	ds_write_b128 v176, v[8:11] offset:7488
	s_waitcnt vmcnt(3)
	v_mul_f64 v[8:9], v[2:3], v[18:19]
	v_mul_f64 v[10:11], v[0:1], v[18:19]
	v_fma_f64 v[8:9], v[0:1], v[16:17], -v[8:9]
	v_fmac_f64_e32 v[10:11], v[2:3], v[16:17]
	s_waitcnt vmcnt(2)
	v_mul_f64 v[0:1], v[34:35], v[22:23]
	v_mul_f64 v[2:3], v[32:33], v[22:23]
	v_fma_f64 v[0:1], v[32:33], v[20:21], -v[0:1]
	v_fmac_f64_e32 v[2:3], v[34:35], v[20:21]
	ds_write_b128 v176, v[0:3] offset:3744
	ds_read_b128 v[0:3], v176 offset:14976
	ds_write_b128 v176, v[8:11] offset:13104
	s_waitcnt vmcnt(1) lgkmcnt(4)
	v_mul_f64 v[8:9], v[6:7], v[26:27]
	v_mul_f64 v[10:11], v[4:5], v[26:27]
	v_fma_f64 v[8:9], v[4:5], v[24:25], -v[8:9]
	v_fmac_f64_e32 v[10:11], v[6:7], v[24:25]
	s_waitcnt vmcnt(0) lgkmcnt(1)
	v_mul_f64 v[4:5], v[2:3], v[30:31]
	v_mul_f64 v[6:7], v[0:1], v[30:31]
	v_fma_f64 v[4:5], v[0:1], v[28:29], -v[4:5]
	v_fmac_f64_e32 v[6:7], v[2:3], v[28:29]
	ds_write_b128 v176, v[8:11] offset:9360
	ds_write_b128 v176, v[4:7] offset:14976
	s_waitcnt lgkmcnt(0)
	s_barrier
	ds_read_b128 v[0:3], v176
	ds_read_b128 v[4:7], v176 offset:1872
	ds_read_b128 v[8:11], v176 offset:11232
	;; [unrolled: 1-line block ×8, first 2 shown]
	s_waitcnt lgkmcnt(4)
	v_add_f64 v[44:45], v[0:1], v[16:17]
	v_add_f64 v[164:165], v[44:45], v[8:9]
	;; [unrolled: 1-line block ×3, first 2 shown]
	v_fmac_f64_e32 v[0:1], -0.5, v[44:45]
	v_add_f64 v[44:45], v[18:19], -v[10:11]
	v_fma_f64 v[168:169], s[12:13], v[44:45], v[0:1]
	v_fmac_f64_e32 v[0:1], s[8:9], v[44:45]
	v_add_f64 v[44:45], v[2:3], v[18:19]
	v_add_f64 v[166:167], v[44:45], v[10:11]
	;; [unrolled: 1-line block ×3, first 2 shown]
	v_fmac_f64_e32 v[2:3], -0.5, v[10:11]
	v_add_f64 v[8:9], v[16:17], -v[8:9]
	s_waitcnt lgkmcnt(2)
	v_add_f64 v[10:11], v[24:25], v[12:13]
	v_fma_f64 v[170:171], s[8:9], v[8:9], v[2:3]
	v_fmac_f64_e32 v[2:3], s[12:13], v[8:9]
	v_add_f64 v[8:9], v[4:5], v[24:25]
	v_fmac_f64_e32 v[4:5], -0.5, v[10:11]
	v_add_f64 v[10:11], v[26:27], -v[14:15]
	v_fma_f64 v[16:17], s[12:13], v[10:11], v[4:5]
	v_fmac_f64_e32 v[4:5], s[8:9], v[10:11]
	v_add_f64 v[10:11], v[6:7], v[26:27]
	v_add_f64 v[10:11], v[10:11], v[14:15]
	;; [unrolled: 1-line block ×4, first 2 shown]
	v_fmac_f64_e32 v[6:7], -0.5, v[14:15]
	v_add_f64 v[12:13], v[24:25], -v[12:13]
	s_waitcnt lgkmcnt(0)
	v_add_f64 v[14:15], v[28:29], v[32:33]
	v_fma_f64 v[18:19], s[8:9], v[12:13], v[6:7]
	v_fmac_f64_e32 v[6:7], s[12:13], v[12:13]
	v_add_f64 v[12:13], v[20:21], v[28:29]
	v_fmac_f64_e32 v[20:21], -0.5, v[14:15]
	v_add_f64 v[14:15], v[30:31], -v[34:35]
	v_add_f64 v[26:27], v[30:31], v[34:35]
	v_fma_f64 v[24:25], s[12:13], v[14:15], v[20:21]
	v_fmac_f64_e32 v[20:21], s[8:9], v[14:15]
	v_add_f64 v[14:15], v[22:23], v[30:31]
	v_fmac_f64_e32 v[22:23], -0.5, v[26:27]
	v_add_f64 v[28:29], v[28:29], -v[32:33]
	v_fma_f64 v[26:27], s[8:9], v[28:29], v[22:23]
	v_fmac_f64_e32 v[22:23], s[12:13], v[28:29]
	v_accvgpr_read_b32 v28, a37
	s_barrier
	ds_write_b128 v28, v[164:167]
	ds_write_b128 v28, v[168:171] offset:16
	ds_write_b128 v28, v[0:3] offset:32
	v_accvgpr_read_b32 v0, a38
	v_add_f64 v[12:13], v[12:13], v[32:33]
	v_add_f64 v[14:15], v[14:15], v[34:35]
	ds_write_b128 v0, v[8:11]
	ds_write_b128 v0, v[16:19] offset:16
	ds_write_b128 v0, v[4:7] offset:32
	v_accvgpr_read_b32 v0, a39
	ds_write_b128 v0, v[12:15]
	ds_write_b128 v0, v[24:27] offset:16
	ds_write_b128 v0, v[20:23] offset:32
	s_waitcnt lgkmcnt(0)
	s_barrier
	ds_read_b128 v[164:167], v176
	ds_read_b128 v[168:171], v176 offset:1872
	ds_read_b128 v[0:3], v176 offset:11232
	;; [unrolled: 1-line block ×8, first 2 shown]
	s_waitcnt lgkmcnt(4)
	v_mul_f64 v[24:25], v[42:43], v[10:11]
	v_fmac_f64_e32 v[24:25], v[40:41], v[8:9]
	v_mul_f64 v[8:9], v[42:43], v[8:9]
	v_fma_f64 v[8:9], v[40:41], v[10:11], -v[8:9]
	v_mul_f64 v[10:11], v[38:39], v[2:3]
	v_fmac_f64_e32 v[10:11], v[36:37], v[0:1]
	v_mul_f64 v[0:1], v[38:39], v[0:1]
	v_fma_f64 v[0:1], v[36:37], v[2:3], -v[0:1]
	s_waitcnt lgkmcnt(2)
	v_mul_f64 v[2:3], v[50:51], v[14:15]
	v_fmac_f64_e32 v[2:3], v[48:49], v[12:13]
	v_mul_f64 v[12:13], v[50:51], v[12:13]
	v_fma_f64 v[12:13], v[48:49], v[14:15], -v[12:13]
	v_mul_f64 v[14:15], v[58:59], v[6:7]
	v_fmac_f64_e32 v[14:15], v[56:57], v[4:5]
	v_mul_f64 v[4:5], v[58:59], v[4:5]
	v_fma_f64 v[4:5], v[56:57], v[6:7], -v[4:5]
	s_waitcnt lgkmcnt(1)
	v_mul_f64 v[6:7], v[62:63], v[18:19]
	v_fmac_f64_e32 v[6:7], v[60:61], v[16:17]
	v_mul_f64 v[16:17], v[62:63], v[16:17]
	v_fma_f64 v[16:17], v[60:61], v[18:19], -v[16:17]
	s_waitcnt lgkmcnt(0)
	v_mul_f64 v[18:19], v[70:71], v[22:23]
	v_fmac_f64_e32 v[18:19], v[68:69], v[20:21]
	v_mul_f64 v[20:21], v[70:71], v[20:21]
	v_fma_f64 v[20:21], v[68:69], v[22:23], -v[20:21]
	v_add_f64 v[22:23], v[164:165], v[24:25]
	v_add_f64 v[36:37], v[22:23], v[10:11]
	v_add_f64 v[22:23], v[24:25], v[10:11]
	v_fmac_f64_e32 v[164:165], -0.5, v[22:23]
	v_add_f64 v[22:23], v[8:9], -v[0:1]
	v_fma_f64 v[40:41], s[12:13], v[22:23], v[164:165]
	v_fmac_f64_e32 v[164:165], s[8:9], v[22:23]
	v_add_f64 v[22:23], v[166:167], v[8:9]
	v_add_f64 v[38:39], v[22:23], v[0:1]
	v_add_f64 v[0:1], v[8:9], v[0:1]
	v_fmac_f64_e32 v[166:167], -0.5, v[0:1]
	v_add_f64 v[0:1], v[24:25], -v[10:11]
	v_fma_f64 v[42:43], s[8:9], v[0:1], v[166:167]
	v_fmac_f64_e32 v[166:167], s[12:13], v[0:1]
	;; [unrolled: 7-line block ×6, first 2 shown]
	v_accvgpr_read_b32 v0, a56
	s_barrier
	ds_write_b128 v0, v[36:39]
	ds_write_b128 v0, v[40:43] offset:48
	ds_write_b128 v0, v[164:167] offset:96
	ds_write_b128 v177, v[48:51]
	ds_write_b128 v177, v[56:59] offset:48
	ds_write_b128 v177, v[168:171] offset:96
	ds_write_b128 v179, v[60:63]
	ds_write_b128 v179, v[68:71] offset:48
	ds_write_b128 v179, v[172:175] offset:96
	s_waitcnt lgkmcnt(0)
	s_barrier
	s_and_saveexec_b64 s[0:1], vcc
	s_cbranch_execz .LBB0_7
; %bb.6:
	ds_read_b128 v[36:39], v176
	ds_read_b128 v[40:43], v176 offset:1296
	ds_read_b128 v[164:167], v176 offset:2592
	;; [unrolled: 1-line block ×12, first 2 shown]
.LBB0_7:
	s_or_b64 exec, exec, s[0:1]
	s_waitcnt lgkmcnt(0)
	s_barrier
	s_and_saveexec_b64 s[0:1], vcc
	s_cbranch_execz .LBB0_9
; %bb.8:
	v_mul_f64 v[182:183], v[102:103], v[62:63]
	v_mul_f64 v[0:1], v[102:103], v[60:61]
	v_fmac_f64_e32 v[182:183], v[100:101], v[60:61]
	v_mul_f64 v[184:185], v[98:99], v[70:71]
	v_fma_f64 v[100:101], v[100:101], v[62:63], -v[0:1]
	v_mul_f64 v[0:1], v[98:99], v[68:69]
	v_fmac_f64_e32 v[184:185], v[96:97], v[68:69]
	v_fma_f64 v[96:97], v[96:97], v[70:71], -v[0:1]
	v_mul_f64 v[0:1], v[86:87], v[168:169]
	v_accvgpr_read_b32 v6, a52
	v_mul_f64 v[70:71], v[90:91], v[174:175]
	v_fma_f64 v[98:99], v[84:85], v[170:171], -v[0:1]
	v_mul_f64 v[0:1], v[90:91], v[172:173]
	v_accvgpr_read_b32 v8, a54
	v_accvgpr_read_b32 v9, a55
	v_mul_f64 v[68:69], v[86:87], v[170:171]
	v_fmac_f64_e32 v[70:71], v[88:89], v[172:173]
	v_fma_f64 v[88:89], v[88:89], v[174:175], -v[0:1]
	v_accvgpr_read_b32 v7, a53
	v_mul_f64 v[86:87], v[8:9], v[58:59]
	v_mul_f64 v[0:1], v[8:9], v[56:57]
	v_fmac_f64_e32 v[68:69], v[84:85], v[168:169]
	v_fmac_f64_e32 v[86:87], v[6:7], v[56:57]
	v_fma_f64 v[168:169], v[6:7], v[58:59], -v[0:1]
	v_accvgpr_read_b32 v6, a48
	v_mul_f64 v[0:1], v[106:107], v[160:161]
	v_accvgpr_read_b32 v8, a50
	v_accvgpr_read_b32 v9, a51
	v_fma_f64 v[74:75], v[104:105], v[162:163], -v[0:1]
	v_accvgpr_read_b32 v7, a49
	v_mul_f64 v[90:91], v[8:9], v[50:51]
	v_mul_f64 v[0:1], v[8:9], v[48:49]
	;; [unrolled: 1-line block ×3, first 2 shown]
	v_fmac_f64_e32 v[90:91], v[6:7], v[48:49]
	v_fma_f64 v[106:107], v[6:7], v[50:51], -v[0:1]
	v_accvgpr_read_b32 v6, a44
	v_accvgpr_read_b32 v8, a46
	;; [unrolled: 1-line block ×3, first 2 shown]
	v_mul_f64 v[72:73], v[94:95], v[150:151]
	v_mul_f64 v[0:1], v[94:95], v[148:149]
	v_accvgpr_read_b32 v7, a45
	v_mul_f64 v[2:3], v[8:9], v[164:165]
	v_accvgpr_read_b32 v30, a40
	v_accvgpr_read_b32 v56, a58
	v_fmac_f64_e32 v[72:73], v[92:93], v[148:149]
	v_fma_f64 v[94:95], v[92:93], v[150:151], -v[0:1]
	v_mul_f64 v[92:93], v[82:83], v[130:131]
	v_fma_f64 v[148:149], v[6:7], v[166:167], -v[2:3]
	v_mul_f64 v[2:3], v[82:83], v[128:129]
	v_accvgpr_read_b32 v32, a42
	v_accvgpr_read_b32 v33, a43
	;; [unrolled: 1-line block ×4, first 2 shown]
	v_fmac_f64_e32 v[84:85], v[104:105], v[160:161]
	v_mul_f64 v[104:105], v[8:9], v[166:167]
	v_fmac_f64_e32 v[92:93], v[80:81], v[128:129]
	v_fma_f64 v[82:83], v[80:81], v[130:131], -v[2:3]
	v_accvgpr_read_b32 v31, a41
	v_mul_f64 v[128:129], v[32:33], v[42:43]
	v_accvgpr_read_b32 v57, a59
	v_mul_f64 v[80:81], v[58:59], v[126:127]
	v_mul_f64 v[2:3], v[32:33], v[40:41]
	v_fmac_f64_e32 v[104:105], v[6:7], v[164:165]
	v_fmac_f64_e32 v[128:129], v[30:31], v[40:41]
	;; [unrolled: 1-line block ×3, first 2 shown]
	s_mov_b32 s28, 0x4bc48dbf
	v_fma_f64 v[6:7], v[30:31], v[42:43], -v[2:3]
	v_mul_f64 v[2:3], v[58:59], v[124:125]
	v_add_f64 v[28:29], v[128:129], -v[80:81]
	s_mov_b32 s29, 0xbfcea1e5
	v_fma_f64 v[2:3], v[56:57], v[126:127], -v[2:3]
	s_mov_b32 s20, 0x24c2f84
	v_add_f64 v[16:17], v[104:105], -v[92:93]
	s_mov_b32 s25, 0x3fddbe06
	s_mov_b32 s24, 0x4267c47c
	;; [unrolled: 1-line block ×3, first 2 shown]
	v_mul_f64 v[50:51], v[28:29], s[28:29]
	v_add_f64 v[12:13], v[6:7], v[2:3]
	s_mov_b32 s34, 0x42a4c3d2
	v_add_f64 v[10:11], v[90:91], -v[72:73]
	s_mov_b32 s21, 0xbfe5384d
	s_mov_b32 s16, 0xd0032e0c
	v_mul_f64 v[48:49], v[16:17], s[24:25]
	v_add_f64 v[8:9], v[148:149], v[82:83]
	s_mov_b32 s19, 0x3fec55a7
	v_fma_f64 v[26:27], s[26:27], v[12:13], v[50:51]
	v_fma_f64 v[50:51], v[12:13], s[26:27], -v[50:51]
	s_mov_b32 s14, 0x2ef20147
	v_add_f64 v[4:5], v[86:87], -v[84:85]
	s_mov_b32 s35, 0x3fea55e2
	s_mov_b32 s12, 0x1ea71119
	v_mul_f64 v[54:55], v[10:11], s[20:21]
	v_add_f64 v[0:1], v[106:107], v[94:95]
	s_mov_b32 s17, 0xbfe7f3cc
	v_fma_f64 v[24:25], s[18:19], v[8:9], v[48:49]
	v_fma_f64 v[48:49], v[8:9], s[18:19], -v[48:49]
	v_add_f64 v[50:51], v[38:39], v[50:51]
	s_mov_b32 s22, 0x66966769
	v_add_f64 v[188:189], v[68:69], -v[70:71]
	s_mov_b32 s15, 0xbfedeba7
	s_mov_b32 s10, 0xb2365da1
	v_mul_f64 v[52:53], v[4:5], s[34:35]
	v_add_f64 v[160:161], v[168:169], v[74:75]
	s_mov_b32 s13, 0x3fe22d96
	v_fma_f64 v[22:23], s[16:17], v[0:1], v[54:55]
	v_add_f64 v[26:27], v[38:39], v[26:27]
	v_add_f64 v[124:125], v[6:7], -v[2:3]
	v_fma_f64 v[54:55], v[0:1], s[16:17], -v[54:55]
	v_add_f64 v[48:49], v[48:49], v[50:51]
	v_add_f64 v[186:187], v[182:183], -v[184:185]
	s_mov_b32 s23, 0x3fefc445
	s_mov_b32 s8, 0xebaa3ed8
	v_mul_f64 v[46:47], v[188:189], s[14:15]
	v_add_f64 v[170:171], v[98:99], v[88:89]
	s_mov_b32 s11, 0xbfd6b1d8
	v_fma_f64 v[20:21], s[12:13], v[160:161], v[52:53]
	v_add_f64 v[24:25], v[24:25], v[26:27]
	v_add_f64 v[78:79], v[148:149], -v[82:83]
	v_add_f64 v[26:27], v[128:129], v[80:81]
	v_mul_f64 v[162:163], v[124:125], s[28:29]
	v_fma_f64 v[52:53], v[160:161], s[12:13], -v[52:53]
	v_add_f64 v[48:49], v[54:55], v[48:49]
	v_mul_f64 v[44:45], v[186:187], s[22:23]
	v_add_f64 v[102:103], v[100:101], v[96:97]
	s_mov_b32 s9, 0x3fbedb7d
	v_fma_f64 v[18:19], s[10:11], v[170:171], v[46:47]
	v_add_f64 v[22:23], v[22:23], v[24:25]
	v_add_f64 v[76:77], v[106:107], -v[94:95]
	v_add_f64 v[24:25], v[104:105], v[92:93]
	v_mul_f64 v[130:131], v[78:79], s[24:25]
	v_fma_f64 v[164:165], v[26:27], s[26:27], -v[162:163]
	v_fma_f64 v[46:47], v[170:171], s[10:11], -v[46:47]
	v_add_f64 v[48:49], v[52:53], v[48:49]
	v_fma_f64 v[14:15], s[8:9], v[102:103], v[44:45]
	v_add_f64 v[20:21], v[20:21], v[22:23]
	v_add_f64 v[34:35], v[168:169], -v[74:75]
	v_add_f64 v[22:23], v[90:91], v[72:73]
	v_mul_f64 v[66:67], v[76:77], s[20:21]
	v_fma_f64 v[150:151], v[24:25], s[18:19], -v[130:131]
	v_add_f64 v[164:165], v[36:37], v[164:165]
	v_fma_f64 v[44:45], v[102:103], s[8:9], -v[44:45]
	v_add_f64 v[46:47], v[46:47], v[48:49]
	v_fmac_f64_e32 v[162:163], s[26:27], v[26:27]
	v_add_f64 v[18:19], v[18:19], v[20:21]
	v_add_f64 v[32:33], v[98:99], -v[88:89]
	v_add_f64 v[20:21], v[86:87], v[84:85]
	v_mul_f64 v[62:63], v[34:35], s[34:35]
	v_fma_f64 v[126:127], v[22:23], s[16:17], -v[66:67]
	v_add_f64 v[150:151], v[150:151], v[164:165]
	v_add_f64 v[46:47], v[44:45], v[46:47]
	v_fmac_f64_e32 v[130:131], s[18:19], v[24:25]
	v_add_f64 v[44:45], v[36:37], v[162:163]
	v_add_f64 v[42:43], v[14:15], v[18:19]
	v_add_f64 v[30:31], v[100:101], -v[96:97]
	v_add_f64 v[18:19], v[68:69], v[70:71]
	v_mul_f64 v[58:59], v[32:33], s[14:15]
	v_fma_f64 v[64:65], v[20:21], s[12:13], -v[62:63]
	v_add_f64 v[126:127], v[126:127], v[150:151]
	v_fmac_f64_e32 v[66:67], s[16:17], v[22:23]
	v_add_f64 v[44:45], v[130:131], v[44:45]
	v_add_f64 v[14:15], v[182:183], v[184:185]
	v_mul_f64 v[56:57], v[30:31], s[22:23]
	v_fma_f64 v[60:61], v[18:19], s[10:11], -v[58:59]
	v_add_f64 v[64:65], v[64:65], v[126:127]
	v_fmac_f64_e32 v[62:63], s[12:13], v[20:21]
	v_add_f64 v[44:45], v[66:67], v[44:45]
	v_mul_f64 v[126:127], v[28:29], s[20:21]
	v_fma_f64 v[40:41], v[14:15], s[8:9], -v[56:57]
	v_add_f64 v[60:61], v[60:61], v[64:65]
	v_fmac_f64_e32 v[58:59], s[10:11], v[18:19]
	v_add_f64 v[44:45], v[62:63], v[44:45]
	s_mov_b32 s31, 0xbfea55e2
	s_mov_b32 s30, s34
	v_mul_f64 v[64:65], v[16:17], s[22:23]
	v_fma_f64 v[130:131], s[16:17], v[12:13], v[126:127]
	v_mul_f64 v[174:175], v[124:125], s[20:21]
	v_add_f64 v[40:41], v[40:41], v[60:61]
	v_fmac_f64_e32 v[56:57], s[8:9], v[14:15]
	v_add_f64 v[44:45], v[58:59], v[44:45]
	s_mov_b32 s41, 0x3fcea1e5
	s_mov_b32 s40, s28
	v_mul_f64 v[60:61], v[10:11], s[30:31]
	v_fma_f64 v[66:67], s[8:9], v[8:9], v[64:65]
	v_add_f64 v[130:131], v[38:39], v[130:131]
	v_mul_f64 v[166:167], v[78:79], s[22:23]
	v_fma_f64 v[190:191], v[26:27], s[16:17], -v[174:175]
	v_add_f64 v[44:45], v[56:57], v[44:45]
	v_mul_f64 v[56:57], v[4:5], s[40:41]
	v_fma_f64 v[62:63], s[12:13], v[0:1], v[60:61]
	v_add_f64 v[66:67], v[66:67], v[130:131]
	v_mul_f64 v[162:163], v[76:77], s[30:31]
	v_fma_f64 v[172:173], v[24:25], s[8:9], -v[166:167]
	v_add_f64 v[190:191], v[36:37], v[190:191]
	;; [unrolled: 6-line block ×4, first 2 shown]
	v_fma_f64 v[48:49], s[10:11], v[102:103], v[52:53]
	v_add_f64 v[50:51], v[50:51], v[58:59]
	v_mul_f64 v[58:59], v[30:31], s[14:15]
	v_fma_f64 v[66:67], v[18:19], s[18:19], -v[62:63]
	v_add_f64 v[150:151], v[150:151], v[164:165]
	v_add_f64 v[50:51], v[48:49], v[50:51]
	v_fma_f64 v[48:49], v[14:15], s[10:11], -v[58:59]
	v_add_f64 v[66:67], v[66:67], v[150:151]
	v_add_f64 v[48:49], v[48:49], v[66:67]
	v_fma_f64 v[66:67], v[12:13], s[16:17], -v[126:127]
	v_fma_f64 v[64:65], v[8:9], s[8:9], -v[64:65]
	v_add_f64 v[66:67], v[38:39], v[66:67]
	v_fma_f64 v[60:61], v[0:1], s[12:13], -v[60:61]
	v_add_f64 v[64:65], v[64:65], v[66:67]
	;; [unrolled: 2-line block ×5, first 2 shown]
	v_fmac_f64_e32 v[174:175], s[16:17], v[26:27]
	v_add_f64 v[54:55], v[52:53], v[54:55]
	v_fmac_f64_e32 v[166:167], s[8:9], v[24:25]
	v_add_f64 v[52:53], v[36:37], v[174:175]
	s_mov_b32 s39, 0x3fe5384d
	s_mov_b32 s38, s20
	v_mul_f64 v[164:165], v[28:29], s[14:15]
	v_fmac_f64_e32 v[162:163], s[12:13], v[22:23]
	v_add_f64 v[52:53], v[166:167], v[52:53]
	v_mul_f64 v[150:151], v[16:17], s[38:39]
	v_fma_f64 v[166:167], s[10:11], v[12:13], v[164:165]
	v_mul_f64 v[196:197], v[124:125], s[14:15]
	v_fmac_f64_e32 v[130:131], s[26:27], v[20:21]
	v_add_f64 v[52:53], v[162:163], v[52:53]
	s_mov_b32 s37, 0xbfefc445
	s_mov_b32 s36, s22
	v_mul_f64 v[126:127], v[10:11], s[24:25]
	v_fma_f64 v[162:163], s[16:17], v[8:9], v[150:151]
	v_add_f64 v[166:167], v[38:39], v[166:167]
	v_mul_f64 v[192:193], v[78:79], s[38:39]
	v_fma_f64 v[198:199], v[26:27], s[10:11], -v[196:197]
	v_fmac_f64_e32 v[62:63], s[18:19], v[18:19]
	v_add_f64 v[52:53], v[130:131], v[52:53]
	v_mul_f64 v[64:65], v[4:5], s[36:37]
	v_fma_f64 v[130:131], s[18:19], v[0:1], v[126:127]
	v_add_f64 v[162:163], v[162:163], v[166:167]
	v_mul_f64 v[174:175], v[76:77], s[24:25]
	v_fma_f64 v[194:195], v[24:25], s[16:17], -v[192:193]
	v_add_f64 v[198:199], v[36:37], v[198:199]
	v_fmac_f64_e32 v[58:59], s[10:11], v[14:15]
	v_add_f64 v[52:53], v[62:63], v[52:53]
	v_mul_f64 v[62:63], v[188:189], s[40:41]
	v_fma_f64 v[66:67], s[8:9], v[160:161], v[64:65]
	v_add_f64 v[130:131], v[130:131], v[162:163]
	v_mul_f64 v[166:167], v[34:35], s[36:37]
	v_fma_f64 v[190:191], v[22:23], s[18:19], -v[174:175]
	v_add_f64 v[194:195], v[194:195], v[198:199]
	v_add_f64 v[52:53], v[58:59], v[52:53]
	v_mul_f64 v[60:61], v[186:187], s[34:35]
	v_fma_f64 v[58:59], s[26:27], v[170:171], v[62:63]
	v_add_f64 v[66:67], v[66:67], v[130:131]
	v_mul_f64 v[130:131], v[32:33], s[40:41]
	v_fma_f64 v[172:173], v[20:21], s[8:9], -v[166:167]
	v_add_f64 v[190:191], v[190:191], v[194:195]
	v_fma_f64 v[56:57], s[12:13], v[102:103], v[60:61]
	v_add_f64 v[58:59], v[58:59], v[66:67]
	v_mul_f64 v[66:67], v[30:31], s[34:35]
	v_fma_f64 v[162:163], v[18:19], s[26:27], -v[130:131]
	v_add_f64 v[172:173], v[172:173], v[190:191]
	v_add_f64 v[58:59], v[56:57], v[58:59]
	v_fma_f64 v[56:57], v[14:15], s[12:13], -v[66:67]
	v_add_f64 v[162:163], v[162:163], v[172:173]
	v_add_f64 v[56:57], v[56:57], v[162:163]
	v_fma_f64 v[162:163], v[12:13], s[10:11], -v[164:165]
	v_fma_f64 v[150:151], v[8:9], s[16:17], -v[150:151]
	v_add_f64 v[162:163], v[38:39], v[162:163]
	v_fma_f64 v[126:127], v[0:1], s[18:19], -v[126:127]
	v_add_f64 v[150:151], v[150:151], v[162:163]
	;; [unrolled: 2-line block ×5, first 2 shown]
	v_fmac_f64_e32 v[196:197], s[10:11], v[26:27]
	v_add_f64 v[62:63], v[60:61], v[62:63]
	v_fmac_f64_e32 v[192:193], s[16:17], v[24:25]
	v_add_f64 v[60:61], v[36:37], v[196:197]
	v_mul_f64 v[190:191], v[28:29], s[36:37]
	v_fmac_f64_e32 v[174:175], s[18:19], v[22:23]
	v_add_f64 v[60:61], v[192:193], v[60:61]
	s_mov_b32 s35, 0x3fedeba7
	s_mov_b32 s34, s14
	v_mul_f64 v[172:173], v[16:17], s[28:29]
	v_fma_f64 v[192:193], s[8:9], v[12:13], v[190:191]
	v_mul_f64 v[204:205], v[124:125], s[36:37]
	v_fmac_f64_e32 v[166:167], s[8:9], v[20:21]
	v_add_f64 v[60:61], v[174:175], v[60:61]
	v_mul_f64 v[164:165], v[10:11], s[34:35]
	v_fma_f64 v[174:175], s[26:27], v[8:9], v[172:173]
	v_add_f64 v[192:193], v[38:39], v[192:193]
	v_mul_f64 v[200:201], v[78:79], s[28:29]
	v_fma_f64 v[206:207], v[26:27], s[8:9], -v[204:205]
	v_fmac_f64_e32 v[130:131], s[26:27], v[18:19]
	v_add_f64 v[60:61], v[166:167], v[60:61]
	v_mul_f64 v[150:151], v[4:5], s[24:25]
	v_fma_f64 v[166:167], s[10:11], v[0:1], v[164:165]
	v_add_f64 v[174:175], v[174:175], v[192:193]
	v_mul_f64 v[196:197], v[76:77], s[34:35]
	v_fma_f64 v[202:203], v[24:25], s[26:27], -v[200:201]
	v_add_f64 v[206:207], v[36:37], v[206:207]
	v_fmac_f64_e32 v[66:67], s[12:13], v[14:15]
	v_add_f64 v[60:61], v[130:131], v[60:61]
	v_mul_f64 v[130:131], v[188:189], s[30:31]
	v_fma_f64 v[162:163], s[18:19], v[160:161], v[150:151]
	v_add_f64 v[166:167], v[166:167], v[174:175]
	v_mul_f64 v[192:193], v[34:35], s[24:25]
	v_fma_f64 v[198:199], v[22:23], s[10:11], -v[196:197]
	v_add_f64 v[202:203], v[202:203], v[206:207]
	v_add_f64 v[60:61], v[66:67], v[60:61]
	v_mul_f64 v[126:127], v[186:187], s[20:21]
	v_fma_f64 v[66:67], s[12:13], v[170:171], v[130:131]
	v_add_f64 v[162:163], v[162:163], v[166:167]
	v_mul_f64 v[166:167], v[32:33], s[30:31]
	v_fma_f64 v[194:195], v[20:21], s[18:19], -v[192:193]
	v_add_f64 v[198:199], v[198:199], v[202:203]
	v_fma_f64 v[64:65], s[16:17], v[102:103], v[126:127]
	v_add_f64 v[66:67], v[66:67], v[162:163]
	v_mul_f64 v[162:163], v[30:31], s[20:21]
	v_fma_f64 v[174:175], v[18:19], s[12:13], -v[166:167]
	v_add_f64 v[194:195], v[194:195], v[198:199]
	v_add_f64 v[66:67], v[64:65], v[66:67]
	v_fma_f64 v[64:65], v[14:15], s[16:17], -v[162:163]
	v_add_f64 v[174:175], v[174:175], v[194:195]
	v_add_f64 v[64:65], v[64:65], v[174:175]
	v_fma_f64 v[174:175], v[12:13], s[8:9], -v[190:191]
	v_fma_f64 v[172:173], v[8:9], s[26:27], -v[172:173]
	v_add_f64 v[174:175], v[38:39], v[174:175]
	v_fma_f64 v[164:165], v[0:1], s[10:11], -v[164:165]
	v_add_f64 v[172:173], v[172:173], v[174:175]
	;; [unrolled: 2-line block ×5, first 2 shown]
	v_fmac_f64_e32 v[204:205], s[8:9], v[26:27]
	v_add_f64 v[164:165], v[126:127], v[130:131]
	v_fmac_f64_e32 v[200:201], s[26:27], v[24:25]
	v_add_f64 v[126:127], v[36:37], v[204:205]
	;; [unrolled: 2-line block ×3, first 2 shown]
	v_mul_f64 v[198:199], v[28:29], s[30:31]
	v_fmac_f64_e32 v[192:193], s[18:19], v[20:21]
	v_add_f64 v[126:127], v[196:197], v[126:127]
	v_mul_f64 v[194:195], v[16:17], s[14:15]
	v_fma_f64 v[200:201], s[12:13], v[12:13], v[198:199]
	v_add_f64 v[126:127], v[192:193], v[126:127]
	v_mul_f64 v[192:193], v[10:11], s[28:29]
	v_fma_f64 v[196:197], s[10:11], v[8:9], v[194:195]
	v_add_f64 v[200:201], v[38:39], v[200:201]
	v_mul_f64 v[212:213], v[124:125], s[30:31]
	v_fmac_f64_e32 v[166:167], s[12:13], v[18:19]
	v_mul_f64 v[190:191], v[4:5], s[38:39]
	v_fma_f64 v[174:175], s[26:27], v[0:1], v[192:193]
	v_add_f64 v[196:197], v[196:197], v[200:201]
	v_mul_f64 v[208:209], v[78:79], s[14:15]
	v_fma_f64 v[214:215], v[26:27], s[12:13], -v[212:213]
	v_fmac_f64_e32 v[162:163], s[16:17], v[14:15]
	v_add_f64 v[126:127], v[166:167], v[126:127]
	v_mul_f64 v[150:151], v[188:189], s[22:23]
	v_fma_f64 v[172:173], s[16:17], v[160:161], v[190:191]
	v_add_f64 v[174:175], v[174:175], v[196:197]
	v_mul_f64 v[204:205], v[76:77], s[28:29]
	v_fma_f64 v[210:211], v[24:25], s[10:11], -v[208:209]
	v_add_f64 v[214:215], v[36:37], v[214:215]
	v_add_f64 v[162:163], v[162:163], v[126:127]
	v_mul_f64 v[126:127], v[186:187], s[24:25]
	v_fma_f64 v[166:167], s[8:9], v[170:171], v[150:151]
	v_add_f64 v[172:173], v[172:173], v[174:175]
	v_mul_f64 v[200:201], v[34:35], s[38:39]
	v_fma_f64 v[206:207], v[22:23], s[26:27], -v[204:205]
	v_add_f64 v[210:211], v[210:211], v[214:215]
	v_fma_f64 v[130:131], s[18:19], v[102:103], v[126:127]
	v_add_f64 v[166:167], v[166:167], v[172:173]
	v_mul_f64 v[196:197], v[32:33], s[22:23]
	v_fma_f64 v[202:203], v[20:21], s[16:17], -v[200:201]
	v_add_f64 v[206:207], v[206:207], v[210:211]
	v_add_f64 v[174:175], v[130:131], v[166:167]
	v_mul_f64 v[130:131], v[30:31], s[24:25]
	v_fma_f64 v[172:173], v[18:19], s[8:9], -v[196:197]
	v_add_f64 v[202:203], v[202:203], v[206:207]
	v_fma_f64 v[166:167], v[14:15], s[18:19], -v[130:131]
	v_add_f64 v[172:173], v[172:173], v[202:203]
	v_add_f64 v[172:173], v[166:167], v[172:173]
	v_fma_f64 v[166:167], v[160:161], s[16:17], -v[190:191]
	v_fma_f64 v[190:191], v[0:1], s[26:27], -v[192:193]
	;; [unrolled: 1-line block ×4, first 2 shown]
	v_add_f64 v[194:195], v[38:39], v[194:195]
	v_add_f64 v[192:193], v[192:193], v[194:195]
	;; [unrolled: 1-line block ×3, first 2 shown]
	v_fma_f64 v[150:151], v[170:171], s[8:9], -v[150:151]
	v_add_f64 v[166:167], v[166:167], v[190:191]
	v_fma_f64 v[126:127], v[102:103], s[18:19], -v[126:127]
	v_add_f64 v[150:151], v[150:151], v[166:167]
	v_fmac_f64_e32 v[212:213], s[12:13], v[26:27]
	v_add_f64 v[192:193], v[126:127], v[150:151]
	v_fmac_f64_e32 v[208:209], s[10:11], v[24:25]
	v_add_f64 v[126:127], v[36:37], v[212:213]
	s_mov_b32 s25, 0xbfddbe06
	v_fmac_f64_e32 v[204:205], s[26:27], v[22:23]
	v_add_f64 v[126:127], v[208:209], v[126:127]
	v_mul_f64 v[10:11], v[10:11], s[36:37]
	v_mul_f64 v[28:29], v[28:29], s[24:25]
	v_fmac_f64_e32 v[200:201], s[16:17], v[20:21]
	v_add_f64 v[126:127], v[204:205], v[126:127]
	v_mul_f64 v[150:151], v[188:189], s[20:21]
	v_fma_f64 v[188:189], s[8:9], v[0:1], v[10:11]
	v_mul_f64 v[16:17], v[16:17], s[30:31]
	v_fma_f64 v[0:1], v[0:1], s[8:9], -v[10:11]
	v_fma_f64 v[10:11], v[12:13], s[18:19], -v[28:29]
	v_fmac_f64_e32 v[196:197], s[8:9], v[18:19]
	v_add_f64 v[126:127], v[200:201], v[126:127]
	v_fma_f64 v[194:195], s[12:13], v[8:9], v[16:17]
	v_fma_f64 v[8:9], v[8:9], s[12:13], -v[16:17]
	v_add_f64 v[10:11], v[38:39], v[10:11]
	v_fmac_f64_e32 v[130:131], s[18:19], v[14:15]
	v_add_f64 v[126:127], v[196:197], v[126:127]
	v_mul_f64 v[4:5], v[4:5], s[14:15]
	v_add_f64 v[8:9], v[8:9], v[10:11]
	v_add_f64 v[190:191], v[130:131], v[126:127]
	v_mul_f64 v[130:131], v[186:187], s[28:29]
	v_fma_f64 v[186:187], s[10:11], v[160:161], v[4:5]
	v_fma_f64 v[4:5], v[160:161], s[10:11], -v[4:5]
	v_add_f64 v[0:1], v[0:1], v[8:9]
	v_fma_f64 v[126:127], s[26:27], v[102:103], v[130:131]
	v_fma_f64 v[196:197], s[18:19], v[12:13], v[28:29]
	v_mul_f64 v[198:199], v[124:125], s[24:25]
	v_fma_f64 v[102:103], v[102:103], s[26:27], -v[130:131]
	v_fma_f64 v[130:131], v[170:171], s[16:17], -v[150:151]
	v_add_f64 v[0:1], v[4:5], v[0:1]
	v_add_f64 v[196:197], v[38:39], v[196:197]
	v_mul_f64 v[78:79], v[78:79], s[30:31]
	v_fma_f64 v[124:125], v[26:27], s[18:19], -v[198:199]
	v_add_f64 v[0:1], v[130:131], v[0:1]
	v_fmac_f64_e32 v[198:199], s[18:19], v[26:27]
	v_add_f64 v[194:195], v[194:195], v[196:197]
	v_mul_f64 v[76:77], v[76:77], s[36:37]
	v_fma_f64 v[196:197], v[24:25], s[12:13], -v[78:79]
	v_add_f64 v[10:11], v[102:103], v[0:1]
	v_fmac_f64_e32 v[78:79], s[12:13], v[24:25]
	v_add_f64 v[0:1], v[36:37], v[198:199]
	v_add_f64 v[188:189], v[188:189], v[194:195]
	v_mul_f64 v[34:35], v[34:35], s[14:15]
	v_fma_f64 v[194:195], v[22:23], s[8:9], -v[76:77]
	v_fmac_f64_e32 v[76:77], s[8:9], v[22:23]
	v_add_f64 v[0:1], v[78:79], v[0:1]
	v_fma_f64 v[166:167], s[16:17], v[170:171], v[150:151]
	v_add_f64 v[186:187], v[186:187], v[188:189]
	v_mul_f64 v[32:33], v[32:33], s[20:21]
	v_fma_f64 v[188:189], v[20:21], s[10:11], -v[34:35]
	v_fmac_f64_e32 v[34:35], s[10:11], v[20:21]
	v_add_f64 v[0:1], v[76:77], v[0:1]
	v_add_f64 v[166:167], v[166:167], v[186:187]
	v_mul_f64 v[30:31], v[30:31], s[28:29]
	v_fma_f64 v[186:187], v[18:19], s[16:17], -v[32:33]
	v_fmac_f64_e32 v[32:33], s[16:17], v[18:19]
	v_add_f64 v[0:1], v[34:35], v[0:1]
	v_add_f64 v[126:127], v[126:127], v[166:167]
	v_fma_f64 v[166:167], v[14:15], s[26:27], -v[30:31]
	v_fmac_f64_e32 v[30:31], s[26:27], v[14:15]
	v_add_f64 v[0:1], v[32:33], v[0:1]
	v_add_f64 v[8:9], v[30:31], v[0:1]
	;; [unrolled: 1-line block ×29, first 2 shown]
	v_mul_u32_u24_e32 v4, 0x75, v233
	v_accvgpr_read_b32 v5, a36
	v_add_f64 v[124:125], v[186:187], v[124:125]
	v_add_f64 v[0:1], v[0:1], v[80:81]
	v_add_lshl_u32 v4, v4, v5, 4
	v_add_f64 v[124:125], v[166:167], v[124:125]
	ds_write_b128 v4, v[0:3]
	ds_write_b128 v4, v[8:11] offset:144
	ds_write_b128 v4, v[190:193] offset:288
	;; [unrolled: 1-line block ×12, first 2 shown]
.LBB0_9:
	s_or_b64 exec, exec, s[0:1]
	s_waitcnt lgkmcnt(0)
	s_barrier
	ds_read_b128 v[0:3], v176
	ds_read_b128 v[4:7], v176 offset:1872
	ds_read_b128 v[8:11], v176 offset:11232
	;; [unrolled: 1-line block ×8, first 2 shown]
	s_waitcnt lgkmcnt(4)
	v_mul_f64 v[42:43], v[114:115], v[18:19]
	v_fmac_f64_e32 v[42:43], v[112:113], v[16:17]
	v_mul_f64 v[16:17], v[114:115], v[16:17]
	v_fma_f64 v[16:17], v[112:113], v[18:19], -v[16:17]
	v_mul_f64 v[18:19], v[110:111], v[10:11]
	v_fmac_f64_e32 v[18:19], v[108:109], v[8:9]
	v_mul_f64 v[8:9], v[110:111], v[8:9]
	v_fma_f64 v[44:45], v[108:109], v[10:11], -v[8:9]
	s_waitcnt lgkmcnt(2)
	v_mul_f64 v[8:9], v[114:115], v[24:25]
	v_mul_f64 v[46:47], v[114:115], v[26:27]
	v_fma_f64 v[26:27], v[112:113], v[26:27], -v[8:9]
	v_mul_f64 v[8:9], v[110:111], v[12:13]
	v_mad_u64_u32 v[38:39], s[0:1], s6, v232, 0
	v_fma_f64 v[50:51], v[108:109], v[14:15], -v[8:9]
	s_waitcnt lgkmcnt(1)
	v_mul_f64 v[8:9], v[122:123], v[28:29]
	v_mul_f64 v[48:49], v[110:111], v[14:15]
	v_fma_f64 v[54:55], v[120:121], v[30:31], -v[8:9]
	s_waitcnt lgkmcnt(0)
	v_mul_f64 v[8:9], v[118:119], v[32:33]
	v_add_f64 v[10:11], v[42:43], v[18:19]
	s_mov_b32 s0, 0xe8584caa
	v_mov_b32_e32 v36, s2
	v_mov_b32_e32 v37, s3
	v_fmac_f64_e32 v[46:47], v[112:113], v[24:25]
	v_fmac_f64_e32 v[48:49], v[108:109], v[12:13]
	v_mul_f64 v[56:57], v[118:119], v[34:35]
	v_fma_f64 v[34:35], v[116:117], v[34:35], -v[8:9]
	v_add_f64 v[8:9], v[0:1], v[42:43]
	v_fmac_f64_e32 v[0:1], -0.5, v[10:11]
	v_add_f64 v[10:11], v[16:17], -v[44:45]
	s_mov_b32 s1, 0xbfebb67a
	s_mov_b32 s3, 0x3febb67a
	;; [unrolled: 1-line block ×3, first 2 shown]
	v_add_f64 v[14:15], v[16:17], v[44:45]
	v_add_f64 v[8:9], v[8:9], v[18:19]
	v_fma_f64 v[12:13], s[0:1], v[10:11], v[0:1]
	v_fmac_f64_e32 v[0:1], s[2:3], v[10:11]
	v_add_f64 v[10:11], v[2:3], v[16:17]
	v_fmac_f64_e32 v[2:3], -0.5, v[14:15]
	v_add_f64 v[16:17], v[42:43], -v[18:19]
	v_add_f64 v[18:19], v[46:47], v[48:49]
	v_mul_f64 v[52:53], v[122:123], v[30:31]
	v_fma_f64 v[14:15], s[2:3], v[16:17], v[2:3]
	v_fmac_f64_e32 v[2:3], s[0:1], v[16:17]
	v_add_f64 v[16:17], v[4:5], v[46:47]
	v_fmac_f64_e32 v[4:5], -0.5, v[18:19]
	v_add_f64 v[18:19], v[26:27], -v[50:51]
	v_fmac_f64_e32 v[52:53], v[120:121], v[28:29]
	v_fmac_f64_e32 v[56:57], v[116:117], v[32:33]
	v_fma_f64 v[24:25], s[0:1], v[18:19], v[4:5]
	v_fmac_f64_e32 v[4:5], s[2:3], v[18:19]
	v_add_f64 v[18:19], v[6:7], v[26:27]
	v_add_f64 v[26:27], v[26:27], v[50:51]
	v_fmac_f64_e32 v[6:7], -0.5, v[26:27]
	v_add_f64 v[28:29], v[46:47], -v[48:49]
	v_add_f64 v[30:31], v[52:53], v[56:57]
	v_fma_f64 v[26:27], s[2:3], v[28:29], v[6:7]
	v_fmac_f64_e32 v[6:7], s[0:1], v[28:29]
	v_add_f64 v[28:29], v[20:21], v[52:53]
	v_fmac_f64_e32 v[20:21], -0.5, v[30:31]
	v_add_f64 v[30:31], v[54:55], -v[34:35]
	v_fma_f64 v[32:33], s[0:1], v[30:31], v[20:21]
	v_fmac_f64_e32 v[20:21], s[2:3], v[30:31]
	v_add_f64 v[30:31], v[22:23], v[54:55]
	v_add_f64 v[30:31], v[30:31], v[34:35]
	;; [unrolled: 1-line block ×3, first 2 shown]
	v_fmac_f64_e32 v[22:23], -0.5, v[34:35]
	v_add_f64 v[42:43], v[52:53], -v[56:57]
	v_add_f64 v[10:11], v[10:11], v[44:45]
	v_add_f64 v[16:17], v[16:17], v[48:49]
	;; [unrolled: 1-line block ×4, first 2 shown]
	v_fma_f64 v[34:35], s[2:3], v[42:43], v[22:23]
	v_fmac_f64_e32 v[22:23], s[0:1], v[42:43]
	s_barrier
	ds_write_b128 v176, v[8:11]
	ds_write_b128 v176, v[12:15] offset:1872
	ds_write_b128 v176, v[0:3] offset:3744
	;; [unrolled: 1-line block ×8, first 2 shown]
	s_waitcnt lgkmcnt(0)
	s_barrier
	ds_read_b128 v[0:3], v176
	ds_read_b128 v[4:7], v176 offset:1872
	ds_read_b128 v[8:11], v176 offset:11232
	;; [unrolled: 1-line block ×8, first 2 shown]
	s_waitcnt lgkmcnt(4)
	v_mul_f64 v[42:43], v[134:135], v[18:19]
	v_fmac_f64_e32 v[42:43], v[132:133], v[16:17]
	v_mul_f64 v[16:17], v[134:135], v[16:17]
	v_fma_f64 v[16:17], v[132:133], v[18:19], -v[16:17]
	v_mul_f64 v[18:19], v[138:139], v[10:11]
	v_fmac_f64_e32 v[18:19], v[136:137], v[8:9]
	v_mul_f64 v[8:9], v[138:139], v[8:9]
	v_fma_f64 v[44:45], v[136:137], v[10:11], -v[8:9]
	s_waitcnt lgkmcnt(2)
	v_mul_f64 v[8:9], v[142:143], v[24:25]
	v_mul_f64 v[46:47], v[142:143], v[26:27]
	v_fma_f64 v[26:27], v[140:141], v[26:27], -v[8:9]
	v_mul_f64 v[8:9], v[146:147], v[12:13]
	v_fma_f64 v[50:51], v[144:145], v[14:15], -v[8:9]
	s_waitcnt lgkmcnt(1)
	v_mul_f64 v[8:9], v[154:155], v[28:29]
	v_mul_f64 v[48:49], v[146:147], v[14:15]
	v_fma_f64 v[54:55], v[152:153], v[30:31], -v[8:9]
	s_waitcnt lgkmcnt(0)
	v_mul_f64 v[8:9], v[158:159], v[32:33]
	v_add_f64 v[10:11], v[42:43], v[18:19]
	v_fmac_f64_e32 v[46:47], v[140:141], v[24:25]
	v_fmac_f64_e32 v[48:49], v[144:145], v[12:13]
	v_mul_f64 v[56:57], v[158:159], v[34:35]
	v_fma_f64 v[34:35], v[156:157], v[34:35], -v[8:9]
	v_add_f64 v[8:9], v[0:1], v[42:43]
	v_fmac_f64_e32 v[0:1], -0.5, v[10:11]
	v_add_f64 v[10:11], v[16:17], -v[44:45]
	v_add_f64 v[14:15], v[16:17], v[44:45]
	v_add_f64 v[8:9], v[8:9], v[18:19]
	v_fma_f64 v[12:13], s[0:1], v[10:11], v[0:1]
	v_fmac_f64_e32 v[0:1], s[2:3], v[10:11]
	v_add_f64 v[10:11], v[2:3], v[16:17]
	v_fmac_f64_e32 v[2:3], -0.5, v[14:15]
	v_add_f64 v[16:17], v[42:43], -v[18:19]
	v_add_f64 v[18:19], v[46:47], v[48:49]
	v_mul_f64 v[52:53], v[154:155], v[30:31]
	v_fma_f64 v[14:15], s[2:3], v[16:17], v[2:3]
	v_fmac_f64_e32 v[2:3], s[0:1], v[16:17]
	v_add_f64 v[16:17], v[4:5], v[46:47]
	v_fmac_f64_e32 v[4:5], -0.5, v[18:19]
	v_add_f64 v[18:19], v[26:27], -v[50:51]
	v_fmac_f64_e32 v[52:53], v[152:153], v[28:29]
	v_fmac_f64_e32 v[56:57], v[156:157], v[32:33]
	v_fma_f64 v[24:25], s[0:1], v[18:19], v[4:5]
	v_fmac_f64_e32 v[4:5], s[2:3], v[18:19]
	v_add_f64 v[18:19], v[6:7], v[26:27]
	v_add_f64 v[26:27], v[26:27], v[50:51]
	v_fmac_f64_e32 v[6:7], -0.5, v[26:27]
	v_add_f64 v[28:29], v[46:47], -v[48:49]
	v_add_f64 v[30:31], v[52:53], v[56:57]
	v_fma_f64 v[26:27], s[2:3], v[28:29], v[6:7]
	v_fmac_f64_e32 v[6:7], s[0:1], v[28:29]
	v_add_f64 v[28:29], v[20:21], v[52:53]
	v_fmac_f64_e32 v[20:21], -0.5, v[30:31]
	v_add_f64 v[30:31], v[54:55], -v[34:35]
	v_fma_f64 v[32:33], s[0:1], v[30:31], v[20:21]
	v_fmac_f64_e32 v[20:21], s[2:3], v[30:31]
	v_add_f64 v[30:31], v[22:23], v[54:55]
	v_add_f64 v[30:31], v[30:31], v[34:35]
	;; [unrolled: 1-line block ×4, first 2 shown]
	v_fmac_f64_e32 v[22:23], -0.5, v[34:35]
	v_add_f64 v[42:43], v[52:53], -v[56:57]
	v_add_f64 v[16:17], v[16:17], v[48:49]
	v_add_f64 v[18:19], v[18:19], v[50:51]
	;; [unrolled: 1-line block ×3, first 2 shown]
	v_fma_f64 v[34:35], s[2:3], v[42:43], v[22:23]
	v_fmac_f64_e32 v[22:23], s[0:1], v[42:43]
	ds_write_b128 v176, v[8:11]
	ds_write_b128 v176, v[12:15] offset:5616
	ds_write_b128 v176, v[0:3] offset:11232
	;; [unrolled: 1-line block ×8, first 2 shown]
	s_waitcnt lgkmcnt(0)
	s_barrier
	ds_read_b128 v[0:3], v176
	v_mov_b32_e32 v40, v39
	v_accvgpr_read_b32 v13, a11
	v_mad_u64_u32 v[4:5], s[0:1], s7, v232, v[40:41]
	v_accvgpr_read_b32 v12, a10
	v_mov_b32_e32 v39, v4
	ds_read_b128 v[4:7], v176 offset:1872
	v_accvgpr_read_b32 v11, a9
	v_accvgpr_read_b32 v10, a8
	s_waitcnt lgkmcnt(1)
	v_mul_f64 v[8:9], v[12:13], v[2:3]
	v_fmac_f64_e32 v[8:9], v[10:11], v[0:1]
	s_mov_b32 s0, 0xad57473c
	v_mul_f64 v[0:1], v[12:13], v[0:1]
	s_mov_b32 s1, 0x3f4f1e63
	v_fma_f64 v[0:1], v[10:11], v[2:3], -v[0:1]
	v_mad_u64_u32 v[12:13], s[2:3], s4, v178, 0
	v_mul_f64 v[10:11], v[0:1], s[0:1]
	v_mov_b32_e32 v0, v13
	v_mad_u64_u32 v[0:1], s[2:3], s5, v178, v[0:1]
	v_mov_b32_e32 v13, v0
	ds_read_b128 v[0:3], v176 offset:5616
	v_lshl_add_u64 v[14:15], v[38:39], 4, v[36:37]
	v_accvgpr_read_b32 v21, a3
	v_mul_f64 v[8:9], v[8:9], s[0:1]
	v_lshl_add_u64 v[16:17], v[12:13], 4, v[14:15]
	v_accvgpr_read_b32 v20, a2
	global_store_dwordx4 v[16:17], v[8:11], off
	ds_read_b128 v[8:11], v176 offset:3744
	v_accvgpr_read_b32 v19, a1
	v_accvgpr_read_b32 v18, a0
	s_waitcnt lgkmcnt(1)
	v_mul_f64 v[12:13], v[20:21], v[2:3]
	v_fmac_f64_e32 v[12:13], v[18:19], v[0:1]
	v_mul_f64 v[0:1], v[20:21], v[0:1]
	v_fma_f64 v[0:1], v[18:19], v[2:3], -v[0:1]
	v_mul_f64 v[14:15], v[0:1], s[0:1]
	ds_read_b128 v[0:3], v176 offset:11232
	v_mov_b32_e32 v22, 0x15f0
	v_mad_u64_u32 v[20:21], s[2:3], s4, v22, v[16:17]
	s_mul_i32 s6, s5, 0x15f0
	v_accvgpr_read_b32 v27, a7
	v_mul_f64 v[12:13], v[12:13], s[0:1]
	v_add_u32_e32 v21, s6, v21
	v_accvgpr_read_b32 v26, a6
	global_store_dwordx4 v[20:21], v[12:15], off
	ds_read_b128 v[12:15], v176 offset:13104
	v_accvgpr_read_b32 v25, a5
	v_accvgpr_read_b32 v24, a4
	s_waitcnt lgkmcnt(1)
	v_mul_f64 v[16:17], v[26:27], v[2:3]
	v_fmac_f64_e32 v[16:17], v[24:25], v[0:1]
	v_mul_f64 v[0:1], v[26:27], v[0:1]
	v_fma_f64 v[0:1], v[24:25], v[2:3], -v[0:1]
	v_mad_u64_u32 v[20:21], s[2:3], s4, v22, v[20:21]
	v_mul_f64 v[16:17], v[16:17], s[0:1]
	v_mul_f64 v[18:19], v[0:1], s[0:1]
	v_add_u32_e32 v21, s6, v21
	global_store_dwordx4 v[20:21], v[16:19], off
	v_mov_b32_e32 v23, 0xffffdb70
	v_mad_u64_u32 v[20:21], s[2:3], s4, v23, v[20:21]
	v_accvgpr_read_b32 v16, a16
	v_accvgpr_read_b32 v18, a18
	;; [unrolled: 1-line block ×4, first 2 shown]
	v_mul_f64 v[0:1], v[18:19], v[6:7]
	v_mul_f64 v[2:3], v[18:19], v[4:5]
	v_fmac_f64_e32 v[0:1], v[16:17], v[4:5]
	v_fma_f64 v[2:3], v[16:17], v[6:7], -v[2:3]
	ds_read_b128 v[4:7], v176 offset:7488
	s_mul_i32 s2, s5, 0xffffdb70
	s_sub_i32 s5, s2, s4
	v_accvgpr_read_b32 v27, a15
	v_mul_f64 v[0:1], v[0:1], s[0:1]
	v_mul_f64 v[2:3], v[2:3], s[0:1]
	v_add_u32_e32 v21, s5, v21
	v_accvgpr_read_b32 v26, a14
	global_store_dwordx4 v[20:21], v[0:3], off
	ds_read_b128 v[0:3], v176 offset:9360
	v_accvgpr_read_b32 v25, a13
	v_accvgpr_read_b32 v24, a12
	s_waitcnt lgkmcnt(1)
	v_mul_f64 v[16:17], v[26:27], v[6:7]
	v_fmac_f64_e32 v[16:17], v[24:25], v[4:5]
	v_mul_f64 v[4:5], v[26:27], v[4:5]
	v_fma_f64 v[4:5], v[24:25], v[6:7], -v[4:5]
	v_mad_u64_u32 v[20:21], s[2:3], s4, v22, v[20:21]
	v_mul_f64 v[16:17], v[16:17], s[0:1]
	v_mul_f64 v[18:19], v[4:5], s[0:1]
	v_add_u32_e32 v21, s6, v21
	global_store_dwordx4 v[20:21], v[16:19], off
	s_nop 1
	v_accvgpr_read_b32 v16, a20
	v_accvgpr_read_b32 v18, a22
	;; [unrolled: 1-line block ×4, first 2 shown]
	v_mul_f64 v[4:5], v[18:19], v[14:15]
	v_mul_f64 v[6:7], v[18:19], v[12:13]
	v_fmac_f64_e32 v[4:5], v[16:17], v[12:13]
	v_fma_f64 v[6:7], v[16:17], v[14:15], -v[6:7]
	v_mad_u64_u32 v[12:13], s[2:3], s4, v22, v[20:21]
	v_accvgpr_read_b32 v14, a24
	v_mul_f64 v[4:5], v[4:5], s[0:1]
	v_mul_f64 v[6:7], v[6:7], s[0:1]
	v_add_u32_e32 v13, s6, v13
	v_accvgpr_read_b32 v16, a26
	v_accvgpr_read_b32 v17, a27
	global_store_dwordx4 v[12:13], v[4:7], off
	v_accvgpr_read_b32 v15, a25
	s_nop 0
	v_mul_f64 v[4:5], v[16:17], v[10:11]
	v_mul_f64 v[6:7], v[16:17], v[8:9]
	v_fmac_f64_e32 v[4:5], v[14:15], v[8:9]
	v_fma_f64 v[6:7], v[14:15], v[10:11], -v[6:7]
	v_mad_u64_u32 v[8:9], s[2:3], s4, v23, v[12:13]
	v_accvgpr_read_b32 v10, a28
	v_mul_f64 v[4:5], v[4:5], s[0:1]
	v_mul_f64 v[6:7], v[6:7], s[0:1]
	v_add_u32_e32 v9, s5, v9
	v_accvgpr_read_b32 v12, a30
	v_accvgpr_read_b32 v13, a31
	global_store_dwordx4 v[8:9], v[4:7], off
	v_accvgpr_read_b32 v11, a29
	v_mad_u64_u32 v[8:9], s[2:3], s4, v22, v[8:9]
	s_waitcnt lgkmcnt(0)
	v_mul_f64 v[4:5], v[12:13], v[2:3]
	v_fmac_f64_e32 v[4:5], v[10:11], v[0:1]
	v_mul_f64 v[0:1], v[12:13], v[0:1]
	v_fma_f64 v[0:1], v[10:11], v[2:3], -v[0:1]
	v_mul_f64 v[6:7], v[0:1], s[0:1]
	ds_read_b128 v[0:3], v176 offset:14976
	v_accvgpr_read_b32 v10, a32
	v_mul_f64 v[4:5], v[4:5], s[0:1]
	v_add_u32_e32 v9, s6, v9
	v_accvgpr_read_b32 v12, a34
	v_accvgpr_read_b32 v13, a35
	global_store_dwordx4 v[8:9], v[4:7], off
	v_accvgpr_read_b32 v11, a33
	s_waitcnt lgkmcnt(0)
	v_mul_f64 v[4:5], v[12:13], v[2:3]
	v_fmac_f64_e32 v[4:5], v[10:11], v[0:1]
	v_mul_f64 v[0:1], v[12:13], v[0:1]
	v_fma_f64 v[0:1], v[10:11], v[2:3], -v[0:1]
	v_mul_f64 v[4:5], v[4:5], s[0:1]
	v_mul_f64 v[6:7], v[0:1], s[0:1]
	v_mad_u64_u32 v[0:1], s[0:1], s4, v22, v[8:9]
	v_add_u32_e32 v1, s6, v1
	global_store_dwordx4 v[0:1], v[4:7], off
.LBB0_10:
	s_endpgm
	.section	.rodata,"a",@progbits
	.p2align	6, 0x0
	.amdhsa_kernel bluestein_single_back_len1053_dim1_dp_op_CI_CI
		.amdhsa_group_segment_fixed_size 16848
		.amdhsa_private_segment_fixed_size 0
		.amdhsa_kernarg_size 104
		.amdhsa_user_sgpr_count 2
		.amdhsa_user_sgpr_dispatch_ptr 0
		.amdhsa_user_sgpr_queue_ptr 0
		.amdhsa_user_sgpr_kernarg_segment_ptr 1
		.amdhsa_user_sgpr_dispatch_id 0
		.amdhsa_user_sgpr_kernarg_preload_length 0
		.amdhsa_user_sgpr_kernarg_preload_offset 0
		.amdhsa_user_sgpr_private_segment_size 0
		.amdhsa_uses_dynamic_stack 0
		.amdhsa_enable_private_segment 0
		.amdhsa_system_sgpr_workgroup_id_x 1
		.amdhsa_system_sgpr_workgroup_id_y 0
		.amdhsa_system_sgpr_workgroup_id_z 0
		.amdhsa_system_sgpr_workgroup_info 0
		.amdhsa_system_vgpr_workitem_id 0
		.amdhsa_next_free_vgpr 370
		.amdhsa_next_free_sgpr 50
		.amdhsa_accum_offset 256
		.amdhsa_reserve_vcc 1
		.amdhsa_float_round_mode_32 0
		.amdhsa_float_round_mode_16_64 0
		.amdhsa_float_denorm_mode_32 3
		.amdhsa_float_denorm_mode_16_64 3
		.amdhsa_dx10_clamp 1
		.amdhsa_ieee_mode 1
		.amdhsa_fp16_overflow 0
		.amdhsa_tg_split 0
		.amdhsa_exception_fp_ieee_invalid_op 0
		.amdhsa_exception_fp_denorm_src 0
		.amdhsa_exception_fp_ieee_div_zero 0
		.amdhsa_exception_fp_ieee_overflow 0
		.amdhsa_exception_fp_ieee_underflow 0
		.amdhsa_exception_fp_ieee_inexact 0
		.amdhsa_exception_int_div_zero 0
	.end_amdhsa_kernel
	.text
.Lfunc_end0:
	.size	bluestein_single_back_len1053_dim1_dp_op_CI_CI, .Lfunc_end0-bluestein_single_back_len1053_dim1_dp_op_CI_CI
                                        ; -- End function
	.section	.AMDGPU.csdata,"",@progbits
; Kernel info:
; codeLenInByte = 18056
; NumSgprs: 56
; NumVgprs: 256
; NumAgprs: 114
; TotalNumVgprs: 370
; ScratchSize: 0
; MemoryBound: 0
; FloatMode: 240
; IeeeMode: 1
; LDSByteSize: 16848 bytes/workgroup (compile time only)
; SGPRBlocks: 6
; VGPRBlocks: 46
; NumSGPRsForWavesPerEU: 56
; NumVGPRsForWavesPerEU: 370
; AccumOffset: 256
; Occupancy: 1
; WaveLimiterHint : 1
; COMPUTE_PGM_RSRC2:SCRATCH_EN: 0
; COMPUTE_PGM_RSRC2:USER_SGPR: 2
; COMPUTE_PGM_RSRC2:TRAP_HANDLER: 0
; COMPUTE_PGM_RSRC2:TGID_X_EN: 1
; COMPUTE_PGM_RSRC2:TGID_Y_EN: 0
; COMPUTE_PGM_RSRC2:TGID_Z_EN: 0
; COMPUTE_PGM_RSRC2:TIDIG_COMP_CNT: 0
; COMPUTE_PGM_RSRC3_GFX90A:ACCUM_OFFSET: 63
; COMPUTE_PGM_RSRC3_GFX90A:TG_SPLIT: 0
	.text
	.p2alignl 6, 3212836864
	.fill 256, 4, 3212836864
	.type	__hip_cuid_ddb26d7cfd770d80,@object ; @__hip_cuid_ddb26d7cfd770d80
	.section	.bss,"aw",@nobits
	.globl	__hip_cuid_ddb26d7cfd770d80
__hip_cuid_ddb26d7cfd770d80:
	.byte	0                               ; 0x0
	.size	__hip_cuid_ddb26d7cfd770d80, 1

	.ident	"AMD clang version 19.0.0git (https://github.com/RadeonOpenCompute/llvm-project roc-6.4.0 25133 c7fe45cf4b819c5991fe208aaa96edf142730f1d)"
	.section	".note.GNU-stack","",@progbits
	.addrsig
	.addrsig_sym __hip_cuid_ddb26d7cfd770d80
	.amdgpu_metadata
---
amdhsa.kernels:
  - .agpr_count:     114
    .args:
      - .actual_access:  read_only
        .address_space:  global
        .offset:         0
        .size:           8
        .value_kind:     global_buffer
      - .actual_access:  read_only
        .address_space:  global
        .offset:         8
        .size:           8
        .value_kind:     global_buffer
      - .actual_access:  read_only
        .address_space:  global
        .offset:         16
        .size:           8
        .value_kind:     global_buffer
      - .actual_access:  read_only
        .address_space:  global
        .offset:         24
        .size:           8
        .value_kind:     global_buffer
      - .actual_access:  read_only
        .address_space:  global
        .offset:         32
        .size:           8
        .value_kind:     global_buffer
      - .offset:         40
        .size:           8
        .value_kind:     by_value
      - .address_space:  global
        .offset:         48
        .size:           8
        .value_kind:     global_buffer
      - .address_space:  global
        .offset:         56
        .size:           8
        .value_kind:     global_buffer
      - .address_space:  global
        .offset:         64
        .size:           8
        .value_kind:     global_buffer
      - .address_space:  global
        .offset:         72
        .size:           8
        .value_kind:     global_buffer
      - .offset:         80
        .size:           4
        .value_kind:     by_value
      - .address_space:  global
        .offset:         88
        .size:           8
        .value_kind:     global_buffer
      - .address_space:  global
        .offset:         96
        .size:           8
        .value_kind:     global_buffer
    .group_segment_fixed_size: 16848
    .kernarg_segment_align: 8
    .kernarg_segment_size: 104
    .language:       OpenCL C
    .language_version:
      - 2
      - 0
    .max_flat_workgroup_size: 117
    .name:           bluestein_single_back_len1053_dim1_dp_op_CI_CI
    .private_segment_fixed_size: 0
    .sgpr_count:     56
    .sgpr_spill_count: 0
    .symbol:         bluestein_single_back_len1053_dim1_dp_op_CI_CI.kd
    .uniform_work_group_size: 1
    .uses_dynamic_stack: false
    .vgpr_count:     370
    .vgpr_spill_count: 0
    .wavefront_size: 64
amdhsa.target:   amdgcn-amd-amdhsa--gfx950
amdhsa.version:
  - 1
  - 2
...

	.end_amdgpu_metadata
